;; amdgpu-corpus repo=ROCm/rocFFT kind=compiled arch=gfx906 opt=O3
	.text
	.amdgcn_target "amdgcn-amd-amdhsa--gfx906"
	.amdhsa_code_object_version 6
	.protected	bluestein_single_fwd_len136_dim1_sp_op_CI_CI ; -- Begin function bluestein_single_fwd_len136_dim1_sp_op_CI_CI
	.globl	bluestein_single_fwd_len136_dim1_sp_op_CI_CI
	.p2align	8
	.type	bluestein_single_fwd_len136_dim1_sp_op_CI_CI,@function
bluestein_single_fwd_len136_dim1_sp_op_CI_CI: ; @bluestein_single_fwd_len136_dim1_sp_op_CI_CI
; %bb.0:
	s_mov_b64 s[22:23], s[2:3]
	v_mul_u32_u24_e32 v1, 0xf10, v0
	s_mov_b64 s[20:21], s[0:1]
	s_load_dwordx4 s[0:3], s[4:5], 0x28
	v_lshrrev_b32_e32 v1, 16, v1
	s_add_u32 s20, s20, s7
	v_mad_u64_u32 v[36:37], s[6:7], s6, 7, v[1:2]
	v_mov_b32_e32 v37, 0
	s_addc_u32 s21, s21, 0
	s_waitcnt lgkmcnt(0)
	v_cmp_gt_u64_e32 vcc, s[0:1], v[36:37]
	s_and_saveexec_b64 s[0:1], vcc
	s_cbranch_execz .LBB0_15
; %bb.1:
	s_mov_b32 s0, 0x24924925
	v_mul_hi_u32 v2, v36, s0
	s_load_dwordx2 s[6:7], s[4:5], 0x0
	s_load_dwordx2 s[12:13], s[4:5], 0x38
	v_mul_lo_u16_e32 v1, 17, v1
	v_sub_u16_e32 v61, v0, v1
	v_sub_u32_e32 v3, v36, v2
	v_lshrrev_b32_e32 v3, 1, v3
	v_add_u32_e32 v2, v3, v2
	v_lshrrev_b32_e32 v2, 2, v2
	v_mul_lo_u32 v2, v2, 7
	v_cmp_gt_u16_e32 vcc, 8, v61
	v_lshlrev_b32_e32 v62, 3, v61
	v_or_b32_e32 v224, 8, v61
	v_sub_u32_e32 v0, v36, v2
	v_mul_u32_u24_e32 v53, 0x88, v0
	v_or_b32_e32 v0, v53, v61
	v_lshlrev_b32_e32 v71, 3, v0
	v_or_b32_e32 v70, 16, v61
	v_or_b32_e32 v69, 24, v61
	;; [unrolled: 1-line block ×7, first 2 shown]
	s_and_saveexec_b64 s[14:15], vcc
	s_cbranch_execz .LBB0_3
; %bb.2:
	s_load_dwordx2 s[0:1], s[4:5], 0x18
	v_mov_b32_e32 v8, s3
	v_or_b32_e32 v39, 0x48, v61
	v_or_b32_e32 v43, 0x58, v61
	;; [unrolled: 1-line block ×3, first 2 shown]
	s_waitcnt lgkmcnt(0)
	s_load_dwordx4 s[8:11], s[0:1], 0x0
	v_or_b32_e32 v56, 0x68, v61
	v_or_b32_e32 v74, 0x78, v61
	;; [unrolled: 1-line block ×3, first 2 shown]
	s_waitcnt lgkmcnt(0)
	v_mad_u64_u32 v[0:1], s[0:1], s10, v36, 0
	v_mad_u64_u32 v[2:3], s[0:1], s8, v61, 0
	;; [unrolled: 1-line block ×5, first 2 shown]
	v_mov_b32_e32 v1, v4
	v_lshlrev_b64 v[0:1], 3, v[0:1]
	v_mov_b32_e32 v3, v5
	v_add_co_u32_e64 v82, s[0:1], s2, v0
	v_mov_b32_e32 v0, v7
	v_addc_co_u32_e64 v83, s[0:1], v8, v1, s[0:1]
	v_mad_u64_u32 v[0:1], s[0:1], s9, v224, v[0:1]
	v_mad_u64_u32 v[4:5], s[0:1], s8, v70, 0
	v_lshlrev_b64 v[2:3], 3, v[2:3]
	v_mov_b32_e32 v7, v0
	v_add_co_u32_e64 v1, s[0:1], v82, v2
	v_mov_b32_e32 v0, v5
	v_addc_co_u32_e64 v2, s[0:1], v83, v3, s[0:1]
	v_mad_u64_u32 v[8:9], s[0:1], s9, v70, v[0:1]
	v_mad_u64_u32 v[9:10], s[0:1], s8, v69, 0
	v_lshlrev_b64 v[6:7], 3, v[6:7]
	v_mov_b32_e32 v5, v8
	v_add_co_u32_e64 v6, s[0:1], v82, v6
	v_mov_b32_e32 v0, v10
	v_addc_co_u32_e64 v7, s[0:1], v83, v7, s[0:1]
	v_mad_u64_u32 v[10:11], s[0:1], s9, v69, v[0:1]
	v_lshlrev_b64 v[3:4], 3, v[4:5]
	v_add_co_u32_e64 v3, s[0:1], v82, v3
	v_addc_co_u32_e64 v4, s[0:1], v83, v4, s[0:1]
	v_lshlrev_b64 v[8:9], 3, v[9:10]
	v_mad_u64_u32 v[10:11], s[0:1], s8, v68, 0
	v_add_co_u32_e64 v8, s[0:1], v82, v8
	v_mov_b32_e32 v0, v11
	v_addc_co_u32_e64 v9, s[0:1], v83, v9, s[0:1]
	v_mad_u64_u32 v[11:12], s[0:1], s9, v68, v[0:1]
	global_load_dwordx2 v[12:13], v[1:2], off
	global_load_dwordx2 v[14:15], v[6:7], off
	;; [unrolled: 1-line block ×4, first 2 shown]
	s_nop 0
	global_load_dwordx2 v[2:3], v62, s[6:7]
	global_load_dwordx2 v[4:5], v62, s[6:7] offset:64
	global_load_dwordx2 v[6:7], v62, s[6:7] offset:128
	;; [unrolled: 1-line block ×3, first 2 shown]
	v_mad_u64_u32 v[0:1], s[0:1], s8, v67, 0
	v_lshlrev_b64 v[10:11], 3, v[10:11]
	s_waitcnt vmcnt(3)
	v_mad_u64_u32 v[20:21], s[0:1], s9, v67, v[1:2]
	v_mad_u64_u32 v[21:22], s[0:1], s8, v66, 0
	v_add_co_u32_e64 v10, s[0:1], v82, v10
	v_mov_b32_e32 v1, v20
	v_mov_b32_e32 v20, v22
	v_addc_co_u32_e64 v11, s[0:1], v83, v11, s[0:1]
	v_mad_u64_u32 v[22:23], s[0:1], s9, v66, v[20:21]
	v_mad_u64_u32 v[23:24], s[0:1], s8, v65, 0
	v_lshlrev_b64 v[0:1], 3, v[0:1]
	v_lshlrev_b64 v[20:21], 3, v[21:22]
	v_add_co_u32_e64 v0, s[0:1], v82, v0
	v_mov_b32_e32 v22, v24
	v_addc_co_u32_e64 v1, s[0:1], v83, v1, s[0:1]
	v_mad_u64_u32 v[24:25], s[0:1], s9, v65, v[22:23]
	v_add_co_u32_e64 v20, s[0:1], v82, v20
	v_lshlrev_b64 v[22:23], 3, v[23:24]
	v_addc_co_u32_e64 v21, s[0:1], v83, v21, s[0:1]
	v_add_co_u32_e64 v22, s[0:1], v82, v22
	v_addc_co_u32_e64 v23, s[0:1], v83, v23, s[0:1]
	v_mad_u64_u32 v[24:25], s[0:1], s8, v223, 0
	global_load_dwordx2 v[26:27], v[10:11], off
	global_load_dwordx2 v[28:29], v[0:1], off
	;; [unrolled: 1-line block ×4, first 2 shown]
	v_mad_u64_u32 v[10:11], s[0:1], s8, v39, 0
	v_mov_b32_e32 v0, v25
	v_mad_u64_u32 v[0:1], s[0:1], s9, v223, v[0:1]
	global_load_dwordx2 v[20:21], v62, s[6:7] offset:256
	global_load_dwordx2 v[22:23], v62, s[6:7] offset:320
	;; [unrolled: 1-line block ×4, first 2 shown]
	v_mov_b32_e32 v25, v0
	v_lshlrev_b64 v[0:1], 3, v[24:25]
	v_mad_u64_u32 v[24:25], s[0:1], s9, v39, v[11:12]
	v_or_b32_e32 v25, 0x50, v61
	v_mad_u64_u32 v[39:40], s[0:1], s8, v25, 0
	v_add_co_u32_e64 v0, s[0:1], v82, v0
	v_mov_b32_e32 v11, v24
	v_mov_b32_e32 v24, v40
	v_addc_co_u32_e64 v1, s[0:1], v83, v1, s[0:1]
	v_mad_u64_u32 v[24:25], s[0:1], s9, v25, v[24:25]
	v_mad_u64_u32 v[41:42], s[0:1], s8, v43, 0
	v_lshlrev_b64 v[10:11], 3, v[10:11]
	v_mov_b32_e32 v40, v24
	v_add_co_u32_e64 v10, s[0:1], v82, v10
	v_lshlrev_b64 v[24:25], 3, v[39:40]
	v_mov_b32_e32 v39, v42
	v_addc_co_u32_e64 v11, s[0:1], v83, v11, s[0:1]
	v_mad_u64_u32 v[39:40], s[0:1], s9, v43, v[39:40]
	v_add_co_u32_e64 v24, s[0:1], v82, v24
	v_mov_b32_e32 v42, v39
	v_lshlrev_b64 v[39:40], 3, v[41:42]
	v_addc_co_u32_e64 v25, s[0:1], v83, v25, s[0:1]
	v_add_co_u32_e64 v39, s[0:1], v82, v39
	v_addc_co_u32_e64 v40, s[0:1], v83, v40, s[0:1]
	v_mad_u64_u32 v[41:42], s[0:1], s8, v51, 0
	global_load_dwordx2 v[43:44], v[0:1], off
	global_load_dwordx2 v[45:46], v[10:11], off
	;; [unrolled: 1-line block ×4, first 2 shown]
	v_mad_u64_u32 v[10:11], s[0:1], s8, v56, 0
	v_mov_b32_e32 v0, v42
	v_mad_u64_u32 v[0:1], s[0:1], s9, v51, v[0:1]
	global_load_dwordx2 v[24:25], v62, s[6:7] offset:512
	global_load_dwordx2 v[39:40], v62, s[6:7] offset:576
	global_load_dwordx2 v[51:52], v62, s[6:7] offset:640
	global_load_dwordx2 v[54:55], v62, s[6:7] offset:704
	v_mov_b32_e32 v42, v0
	v_lshlrev_b64 v[0:1], 3, v[41:42]
	v_mad_u64_u32 v[41:42], s[0:1], s9, v56, v[11:12]
	v_add_co_u32_e64 v0, s[0:1], v82, v0
	v_addc_co_u32_e64 v1, s[0:1], v83, v1, s[0:1]
	global_load_dwordx2 v[0:1], v[0:1], off
	s_nop 0
	global_load_dwordx2 v[59:60], v62, s[6:7] offset:768
	global_load_dwordx2 v[72:73], v62, s[6:7] offset:832
	v_or_b32_e32 v56, 0x70, v61
	v_mov_b32_e32 v11, v41
	v_mad_u64_u32 v[41:42], s[0:1], s8, v56, 0
	v_lshlrev_b64 v[10:11], 3, v[10:11]
	v_add_co_u32_e64 v10, s[0:1], v82, v10
	v_addc_co_u32_e64 v11, s[0:1], v83, v11, s[0:1]
	global_load_dwordx2 v[10:11], v[10:11], off
	s_waitcnt vmcnt(11)
	v_mad_u64_u32 v[56:57], s[0:1], s9, v56, v[42:43]
	v_mad_u64_u32 v[57:58], s[0:1], s8, v74, 0
	v_mov_b32_e32 v42, v56
	v_lshlrev_b64 v[41:42], 3, v[41:42]
	v_mov_b32_e32 v56, v58
	v_mad_u64_u32 v[74:75], s[0:1], s9, v74, v[56:57]
	v_add_co_u32_e64 v41, s[0:1], v82, v41
	v_addc_co_u32_e64 v42, s[0:1], v83, v42, s[0:1]
	v_mov_b32_e32 v58, v74
	v_mad_u64_u32 v[74:75], s[0:1], s8, v76, 0
	v_lshlrev_b64 v[56:57], 3, v[57:58]
	v_add_co_u32_e64 v56, s[0:1], v82, v56
	v_mov_b32_e32 v58, v75
	v_addc_co_u32_e64 v57, s[0:1], v83, v57, s[0:1]
	s_waitcnt vmcnt(2)
	v_mad_u64_u32 v[75:76], s[0:1], s9, v76, v[58:59]
	global_load_dwordx2 v[76:77], v[41:42], off
	global_load_dwordx2 v[78:79], v[56:57], off
	global_load_dwordx2 v[80:81], v62, s[6:7] offset:896
                                        ; kill: killed $vgpr41 killed $vgpr42
                                        ; kill: killed $vgpr56 killed $vgpr57
	s_nop 0
	global_load_dwordx2 v[41:42], v62, s[6:7] offset:960
	v_lshlrev_b64 v[56:57], 3, v[74:75]
	v_add_co_u32_e64 v56, s[0:1], v82, v56
	v_addc_co_u32_e64 v57, s[0:1], v83, v57, s[0:1]
	global_load_dwordx2 v[74:75], v[56:57], off
	global_load_dwordx2 v[82:83], v62, s[6:7] offset:1024
	v_mul_f32_e32 v56, v13, v3
	v_mul_f32_e32 v3, v12, v3
	v_fmac_f32_e32 v56, v12, v2
	v_fma_f32 v57, v13, v2, -v3
	v_mul_f32_e32 v2, v15, v5
	v_mul_f32_e32 v3, v14, v5
	v_fmac_f32_e32 v2, v14, v4
	v_fma_f32 v3, v15, v4, -v3
	v_mul_f32_e32 v4, v17, v7
	v_mul_f32_e32 v5, v16, v7
	v_lshl_add_u32 v12, v53, 3, v62
	v_fmac_f32_e32 v4, v16, v6
	v_fma_f32 v5, v17, v6, -v5
	ds_write_b64 v71, v[56:57]
	ds_write2_b64 v12, v[2:3], v[4:5] offset0:8 offset1:16
	v_mul_f32_e32 v2, v19, v9
	v_mul_f32_e32 v3, v18, v9
	v_mul_f32_e32 v4, v27, v21
	v_mul_f32_e32 v5, v26, v21
	v_fmac_f32_e32 v2, v18, v8
	v_fma_f32 v3, v19, v8, -v3
	v_fmac_f32_e32 v4, v26, v20
	v_fma_f32 v5, v27, v20, -v5
	ds_write2_b64 v12, v[2:3], v[4:5] offset0:24 offset1:32
	v_mul_f32_e32 v2, v29, v23
	v_mul_f32_e32 v3, v28, v23
	v_mul_f32_e32 v4, v31, v35
	v_mul_f32_e32 v5, v30, v35
	v_fmac_f32_e32 v2, v28, v22
	v_fma_f32 v3, v29, v22, -v3
	v_fmac_f32_e32 v4, v30, v34
	v_fma_f32 v5, v31, v34, -v5
	;; [unrolled: 9-line block ×4, first 2 shown]
	ds_write2_b64 v12, v[2:3], v[4:5] offset0:72 offset1:80
	v_mul_f32_e32 v4, v1, v60
	v_mul_f32_e32 v2, v50, v55
	;; [unrolled: 1-line block ×3, first 2 shown]
	v_fmac_f32_e32 v4, v0, v59
	v_mul_f32_e32 v0, v0, v60
	v_fmac_f32_e32 v2, v49, v54
	v_fma_f32 v3, v50, v54, -v3
	v_fma_f32 v5, v1, v59, -v0
	ds_write2_b64 v12, v[2:3], v[4:5] offset0:88 offset1:96
	s_waitcnt vmcnt(6)
	v_mul_f32_e32 v0, v11, v73
	v_mul_f32_e32 v1, v10, v73
	v_fmac_f32_e32 v0, v10, v72
	v_fma_f32 v1, v11, v72, -v1
	s_waitcnt vmcnt(3)
	v_mul_f32_e32 v2, v77, v81
	v_mul_f32_e32 v3, v76, v81
	v_fmac_f32_e32 v2, v76, v80
	v_fma_f32 v3, v77, v80, -v3
	ds_write2_b64 v12, v[0:1], v[2:3] offset0:104 offset1:112
	s_waitcnt vmcnt(2)
	v_mul_f32_e32 v0, v79, v42
	v_mul_f32_e32 v1, v78, v42
	v_fmac_f32_e32 v0, v78, v41
	v_fma_f32 v1, v79, v41, -v1
	s_waitcnt vmcnt(0)
	v_mul_f32_e32 v2, v75, v83
	v_mul_f32_e32 v3, v74, v83
	v_fmac_f32_e32 v2, v74, v82
	v_fma_f32 v3, v75, v82, -v3
	ds_write2_b64 v12, v[0:1], v[2:3] offset0:120 offset1:128
.LBB0_3:
	s_or_b64 exec, exec, s[14:15]
	s_load_dwordx2 s[0:1], s[4:5], 0x20
	s_load_dwordx2 s[8:9], s[4:5], 0x8
	v_mov_b32_e32 v51, 0
	v_mov_b32_e32 v52, 0
	v_lshlrev_b32_e32 v72, 3, v53
	s_waitcnt lgkmcnt(0)
	s_barrier
	s_waitcnt lgkmcnt(0)
                                        ; implicit-def: $vgpr9
                                        ; implicit-def: $vgpr7
                                        ; implicit-def: $vgpr28
                                        ; implicit-def: $vgpr32
                                        ; implicit-def: $vgpr26
                                        ; implicit-def: $vgpr22
                                        ; implicit-def: $vgpr18
                                        ; implicit-def: $vgpr14
	s_and_saveexec_b64 s[2:3], vcc
	s_cbranch_execz .LBB0_5
; %bb.4:
	v_lshl_add_u32 v0, v61, 3, v72
	ds_read_b64 v[51:52], v71
	ds_read2_b64 v[12:15], v0 offset0:8 offset1:16
	ds_read2_b64 v[16:19], v0 offset0:24 offset1:32
	ds_read2_b64 v[20:23], v0 offset0:40 offset1:48
	ds_read2_b64 v[24:27], v0 offset0:56 offset1:64
	ds_read2_b64 v[4:7], v0 offset0:72 offset1:80
	ds_read2_b64 v[8:11], v0 offset0:88 offset1:96
	ds_read2_b64 v[28:31], v0 offset0:104 offset1:112
	ds_read2_b64 v[32:35], v0 offset0:120 offset1:128
.LBB0_5:
	s_or_b64 exec, exec, s[2:3]
	s_waitcnt lgkmcnt(0)
	v_sub_f32_e32 v48, v13, v35
	v_mul_f32_e32 v54, 0xbeb8f4ab, v48
	v_sub_f32_e32 v50, v15, v33
	v_add_f32_e32 v79, v34, v12
	v_sub_f32_e32 v47, v12, v34
	v_mov_b32_e32 v0, v54
	v_mul_f32_e32 v56, 0xbf2c7751, v50
	v_add_f32_e32 v80, v35, v13
	s_mov_b32 s3, 0x3f6eb680
	v_mul_f32_e32 v55, 0xbeb8f4ab, v47
	v_fmac_f32_e32 v0, 0x3f6eb680, v79
	v_add_f32_e32 v83, v32, v14
	v_sub_f32_e32 v49, v14, v32
	v_mov_b32_e32 v2, v56
	v_add_f32_e32 v0, v0, v51
	v_fma_f32 v1, v80, s3, -v55
	s_mov_b32 s4, 0x3f3d2fb0
	v_add_f32_e32 v84, v33, v15
	v_mul_f32_e32 v57, 0xbf2c7751, v49
	v_fmac_f32_e32 v2, 0x3f3d2fb0, v83
	v_sub_f32_e32 v114, v17, v31
	v_add_f32_e32 v1, v1, v52
	v_add_f32_e32 v0, v2, v0
	v_fma_f32 v2, v84, s4, -v57
	v_mul_f32_e32 v58, 0xbf65296c, v114
	v_add_f32_e32 v1, v2, v1
	v_add_f32_e32 v87, v30, v16
	v_sub_f32_e32 v74, v16, v30
	v_mov_b32_e32 v2, v58
	s_mov_b32 s5, 0x3ee437d1
	v_add_f32_e32 v88, v31, v17
	v_mul_f32_e32 v59, 0xbf65296c, v74
	v_fmac_f32_e32 v2, 0x3ee437d1, v87
	v_sub_f32_e32 v132, v19, v29
	v_add_f32_e32 v0, v2, v0
	v_fma_f32 v2, v88, s5, -v59
	v_mul_f32_e32 v60, 0xbf7ee86f, v132
	v_add_f32_e32 v1, v2, v1
	v_add_f32_e32 v94, v28, v18
	v_mov_b32_e32 v2, v60
	v_sub_f32_e32 v133, v18, v28
	s_mov_b32 s2, 0x3dbcf732
	v_add_f32_e32 v95, v29, v19
	v_fmac_f32_e32 v2, 0x3dbcf732, v94
	v_mul_f32_e32 v63, 0xbf7ee86f, v133
	v_sub_f32_e32 v146, v21, v11
	v_add_f32_e32 v0, v2, v0
	v_fma_f32 v2, v95, s2, -v63
	v_mul_f32_e32 v64, 0xbf763a35, v146
	v_add_f32_e32 v1, v2, v1
	v_add_f32_e32 v109, v10, v20
	v_mov_b32_e32 v2, v64
	v_sub_f32_e32 v148, v20, v10
	v_fmac_f32_e32 v2, 0xbe8c1d8e, v109
	s_mov_b32 s10, 0xbe8c1d8e
	v_add_f32_e32 v110, v11, v21
	v_mul_f32_e32 v78, 0xbf763a35, v148
	v_sub_f32_e32 v155, v23, v9
	v_add_f32_e32 v0, v2, v0
	v_fma_f32 v2, v110, s10, -v78
	v_mul_f32_e32 v75, 0xbf4c4adb, v155
	v_add_f32_e32 v1, v2, v1
	v_add_f32_e32 v107, v8, v22
	v_mov_b32_e32 v2, v75
	v_sub_f32_e32 v157, v22, v8
	v_fmac_f32_e32 v2, 0xbf1a4643, v107
	s_mov_b32 s11, 0xbf1a4643
	v_add_f32_e32 v108, v9, v23
	;; [unrolled: 12-line block ×3, first 2 shown]
	v_mul_f32_e32 v82, 0xbf06c442, v203
	v_sub_f32_e32 v204, v27, v5
	v_add_f32_e32 v0, v2, v0
	v_fma_f32 v2, v115, s14, -v82
	v_mul_f32_e32 v85, 0xbe3c28d5, v204
	v_add_f32_e32 v1, v2, v1
	v_add_f32_e32 v126, v4, v26
	v_mov_b32_e32 v2, v85
	v_sub_f32_e32 v205, v26, v4
	s_mov_b32 s15, 0xbf7ba420
	v_fmac_f32_e32 v2, 0xbf7ba420, v126
	v_add_f32_e32 v128, v5, v27
	v_mul_f32_e32 v86, 0xbe3c28d5, v205
	v_mul_f32_e32 v89, 0xbf2c7751, v48
	v_fma_f32 v3, v128, s15, -v86
	v_add_f32_e32 v2, v2, v0
	v_mov_b32_e32 v0, v89
	v_mul_f32_e32 v90, 0xbf7ee86f, v50
	v_add_f32_e32 v3, v3, v1
	v_fmac_f32_e32 v0, 0x3f3d2fb0, v79
	v_mov_b32_e32 v1, v90
	v_add_f32_e32 v0, v0, v51
	v_fmac_f32_e32 v1, 0x3dbcf732, v83
	v_mul_f32_e32 v96, 0xbf2c7751, v47
	v_add_f32_e32 v0, v1, v0
	v_fma_f32 v1, v80, s4, -v96
	v_mul_f32_e32 v97, 0xbf7ee86f, v49
	v_add_f32_e32 v1, v1, v52
	v_fma_f32 v37, v84, s2, -v97
	v_mul_f32_e32 v91, 0xbf4c4adb, v114
	v_add_f32_e32 v1, v37, v1
	v_mov_b32_e32 v37, v91
	v_fmac_f32_e32 v37, 0xbf1a4643, v87
	v_mul_f32_e32 v99, 0xbf4c4adb, v74
	v_add_f32_e32 v0, v37, v0
	v_fma_f32 v37, v88, s11, -v99
	v_mul_f32_e32 v92, 0xbe3c28d5, v132
	v_add_f32_e32 v1, v37, v1
	v_mov_b32_e32 v37, v92
	v_fmac_f32_e32 v37, 0xbf7ba420, v94
	v_mul_f32_e32 v101, 0xbe3c28d5, v133
	v_add_f32_e32 v0, v37, v0
	v_fma_f32 v37, v95, s15, -v101
	v_mul_f32_e32 v93, 0x3f06c442, v146
	v_add_f32_e32 v1, v37, v1
	v_mov_b32_e32 v37, v93
	v_fmac_f32_e32 v37, 0xbf59a7d5, v109
	v_mul_f32_e32 v103, 0x3f06c442, v148
	v_add_f32_e32 v0, v37, v0
	v_fma_f32 v37, v110, s14, -v103
	v_mul_f32_e32 v98, 0x3f763a35, v155
	v_add_f32_e32 v1, v37, v1
	v_mov_b32_e32 v37, v98
	v_fmac_f32_e32 v37, 0xbe8c1d8e, v107
	v_mul_f32_e32 v104, 0x3f763a35, v157
	v_add_f32_e32 v0, v37, v0
	v_fma_f32 v37, v108, s10, -v104
	v_mul_f32_e32 v100, 0x3f65296c, v202
	v_add_f32_e32 v1, v37, v1
	v_mov_b32_e32 v37, v100
	v_fmac_f32_e32 v37, 0x3ee437d1, v111
	v_mul_f32_e32 v105, 0x3f65296c, v203
	v_add_f32_e32 v0, v37, v0
	v_fma_f32 v37, v115, s5, -v105
	v_mul_f32_e32 v102, 0x3eb8f4ab, v204
	v_add_f32_e32 v1, v37, v1
	v_mov_b32_e32 v37, v102
	v_fmac_f32_e32 v37, 0x3f6eb680, v126
	v_mul_f32_e32 v106, 0x3eb8f4ab, v205
	v_add_f32_e32 v0, v37, v0
	v_fma_f32 v37, v128, s3, -v106
	v_mul_f32_e32 v112, 0xbf65296c, v48
	v_add_f32_e32 v1, v37, v1
	v_mov_b32_e32 v37, v112
	v_mul_f32_e32 v113, 0xbf4c4adb, v50
	v_fmac_f32_e32 v37, 0x3ee437d1, v79
	v_mov_b32_e32 v38, v113
	v_add_f32_e32 v37, v37, v51
	v_fmac_f32_e32 v38, 0xbf1a4643, v83
	v_mul_f32_e32 v119, 0xbf65296c, v47
	v_add_f32_e32 v37, v38, v37
	v_fma_f32 v38, v80, s5, -v119
	v_mul_f32_e32 v120, 0xbf4c4adb, v49
	v_add_f32_e32 v38, v38, v52
	v_fma_f32 v39, v84, s11, -v120
	v_mul_f32_e32 v116, 0x3e3c28d5, v114
	v_add_f32_e32 v38, v39, v38
	v_mov_b32_e32 v39, v116
	v_fmac_f32_e32 v39, 0xbf7ba420, v87
	v_mul_f32_e32 v122, 0x3e3c28d5, v74
	v_add_f32_e32 v37, v39, v37
	v_fma_f32 v39, v88, s15, -v122
	v_mul_f32_e32 v117, 0x3f763a35, v132
	v_add_f32_e32 v38, v39, v38
	v_mov_b32_e32 v39, v117
	v_fmac_f32_e32 v39, 0xbe8c1d8e, v94
	v_mul_f32_e32 v124, 0x3f763a35, v133
	v_add_f32_e32 v37, v39, v37
	v_fma_f32 v39, v95, s10, -v124
	v_mul_f32_e32 v118, 0x3f2c7751, v146
	v_add_f32_e32 v38, v39, v38
	v_mov_b32_e32 v39, v118
	v_fmac_f32_e32 v39, 0x3f3d2fb0, v109
	v_mul_f32_e32 v127, 0x3f2c7751, v148
	v_add_f32_e32 v37, v39, v37
	v_fma_f32 v39, v110, s4, -v127
	v_mul_f32_e32 v121, 0xbeb8f4ab, v155
	v_add_f32_e32 v38, v39, v38
	v_mov_b32_e32 v39, v121
	v_fmac_f32_e32 v39, 0x3f6eb680, v107
	v_mul_f32_e32 v129, 0xbeb8f4ab, v157
	v_add_f32_e32 v37, v39, v37
	v_fma_f32 v39, v108, s3, -v129
	v_mul_f32_e32 v123, 0xbf7ee86f, v202
	v_add_f32_e32 v38, v39, v38
	v_mov_b32_e32 v39, v123
	v_fmac_f32_e32 v39, 0x3dbcf732, v111
	v_mul_f32_e32 v130, 0xbf7ee86f, v203
	v_add_f32_e32 v37, v39, v37
	v_fma_f32 v39, v115, s2, -v130
	v_mul_f32_e32 v125, 0xbf06c442, v204
	v_add_f32_e32 v38, v39, v38
	v_mov_b32_e32 v39, v125
	v_fmac_f32_e32 v39, 0xbf59a7d5, v126
	v_mul_f32_e32 v131, 0xbf06c442, v205
	v_add_f32_e32 v37, v39, v37
	v_fma_f32 v39, v128, s14, -v131
	v_mul_f32_e32 v134, 0xbf7ee86f, v48
	v_add_f32_e32 v38, v39, v38
	v_mov_b32_e32 v39, v134
	v_mul_f32_e32 v135, 0xbe3c28d5, v50
	;; [unrolled: 56-line block ×5, first 2 shown]
	v_fmac_f32_e32 v45, 0xbf59a7d5, v79
	v_mov_b32_e32 v46, v187
	v_add_f32_e32 v45, v45, v51
	v_fmac_f32_e32 v46, 0x3ee437d1, v83
	v_mul_f32_e32 v198, 0xbf06c442, v47
	v_add_f32_e32 v45, v46, v45
	v_fma_f32 v46, v80, s14, -v198
	v_mul_f32_e32 v195, 0x3f65296c, v49
	v_add_f32_e32 v46, v46, v52
	v_fma_f32 v188, v84, s5, -v195
	v_add_f32_e32 v46, v188, v46
	v_mul_f32_e32 v188, 0xbf7ee86f, v114
	v_mov_b32_e32 v189, v188
	v_fmac_f32_e32 v189, 0x3dbcf732, v87
	v_mul_f32_e32 v196, 0xbf7ee86f, v74
	v_add_f32_e32 v45, v189, v45
	v_fma_f32 v189, v88, s2, -v196
	v_add_f32_e32 v46, v189, v46
	v_mul_f32_e32 v189, 0x3f4c4adb, v132
	v_mov_b32_e32 v190, v189
	v_fmac_f32_e32 v190, 0xbf1a4643, v94
	;; [unrolled: 7-line block ×3, first 2 shown]
	v_mul_f32_e32 v197, 0xbeb8f4ab, v148
	v_add_f32_e32 v45, v191, v45
	v_fma_f32 v191, v110, s3, -v197
	v_mul_f32_e32 v192, 0xbe3c28d5, v155
	v_add_f32_e32 v46, v191, v46
	v_mov_b32_e32 v191, v192
	v_fmac_f32_e32 v191, 0xbf7ba420, v107
	v_mul_f32_e32 v199, 0xbe3c28d5, v157
	v_add_f32_e32 v45, v191, v45
	v_fma_f32 v191, v108, s15, -v199
	v_add_f32_e32 v46, v191, v46
	v_mul_f32_e32 v191, 0x3f2c7751, v202
	v_mov_b32_e32 v193, v191
	v_fmac_f32_e32 v193, 0x3f3d2fb0, v111
	v_mul_f32_e32 v200, 0x3f2c7751, v203
	v_add_f32_e32 v45, v193, v45
	v_fma_f32 v193, v115, s4, -v200
	v_add_f32_e32 v46, v193, v46
	v_mul_f32_e32 v193, 0xbf763a35, v204
	v_mov_b32_e32 v201, v193
	v_fmac_f32_e32 v201, 0xbe8c1d8e, v126
	v_add_f32_e32 v45, v201, v45
	v_mul_f32_e32 v201, 0xbf763a35, v205
	v_fma_f32 v206, v128, s10, -v201
	v_add_f32_e32 v46, v206, v46
	v_mul_f32_e32 v206, 0xbe3c28d5, v48
	v_fma_f32 v48, v79, s15, -v206
	v_mul_f32_e32 v50, 0x3eb8f4ab, v50
	v_add_f32_e32 v48, v48, v51
	v_fma_f32 v207, v83, s3, -v50
	v_add_f32_e32 v48, v207, v48
	v_mul_f32_e32 v207, 0xbe3c28d5, v47
	v_mov_b32_e32 v47, v207
	v_mul_f32_e32 v49, 0x3eb8f4ab, v49
	v_fmac_f32_e32 v47, 0xbf7ba420, v80
	v_mov_b32_e32 v208, v49
	v_add_f32_e32 v47, v47, v52
	v_fmac_f32_e32 v208, 0x3f6eb680, v84
	v_mul_f32_e32 v114, 0xbf06c442, v114
	v_add_f32_e32 v47, v208, v47
	v_fma_f32 v208, v87, s14, -v114
	v_mul_f32_e32 v74, 0xbf06c442, v74
	v_add_f32_e32 v48, v208, v48
	v_mov_b32_e32 v208, v74
	v_fmac_f32_e32 v208, 0xbf59a7d5, v88
	v_mul_f32_e32 v132, 0x3f2c7751, v132
	v_add_f32_e32 v47, v208, v47
	v_fma_f32 v208, v94, s4, -v132
	v_mul_f32_e32 v133, 0x3f2c7751, v133
	v_add_f32_e32 v48, v208, v48
	v_mov_b32_e32 v208, v133
	;; [unrolled: 7-line block ×3, first 2 shown]
	v_fmac_f32_e32 v208, 0xbf1a4643, v110
	v_mul_f32_e32 v155, 0x3f65296c, v155
	v_fmac_f32_e32 v206, 0xbf7ba420, v79
	v_add_f32_e32 v47, v208, v47
	v_fma_f32 v208, v107, s5, -v155
	v_mul_f32_e32 v157, 0x3f65296c, v157
	v_add_f32_e32 v206, v206, v51
	v_fmac_f32_e32 v50, 0x3f6eb680, v83
	v_add_f32_e32 v48, v208, v48
	v_mov_b32_e32 v208, v157
	v_add_f32_e32 v50, v50, v206
	v_fma_f32 v206, v80, s15, -v207
	v_fmac_f32_e32 v208, 0x3ee437d1, v108
	v_mul_f32_e32 v202, 0xbf763a35, v202
	v_add_f32_e32 v206, v206, v52
	v_fma_f32 v49, v84, s3, -v49
	v_fmac_f32_e32 v114, 0xbf59a7d5, v87
	v_add_f32_e32 v47, v208, v47
	v_fma_f32 v208, v111, s10, -v202
	v_mul_f32_e32 v203, 0xbf763a35, v203
	v_add_f32_e32 v49, v49, v206
	v_add_f32_e32 v50, v114, v50
	v_fma_f32 v74, v88, s14, -v74
	v_fmac_f32_e32 v132, 0x3f3d2fb0, v94
	v_add_f32_e32 v48, v208, v48
	v_mov_b32_e32 v208, v203
	v_add_f32_e32 v49, v74, v49
	v_add_f32_e32 v50, v132, v50
	v_fma_f32 v74, v95, s4, -v133
	v_fmac_f32_e32 v146, 0xbf1a4643, v109
	v_fmac_f32_e32 v208, 0xbe8c1d8e, v115
	v_mul_f32_e32 v204, 0x3f7ee86f, v204
	v_add_f32_e32 v49, v74, v49
	v_add_f32_e32 v50, v146, v50
	v_fma_f32 v74, v110, s11, -v148
	v_fmac_f32_e32 v155, 0x3ee437d1, v107
	v_add_f32_e32 v208, v208, v47
	v_fma_f32 v47, v126, s2, -v204
	v_mul_f32_e32 v205, 0x3f7ee86f, v205
	v_add_f32_e32 v49, v74, v49
	v_add_f32_e32 v50, v155, v50
	v_fma_f32 v74, v108, s5, -v157
	v_fmac_f32_e32 v202, 0xbe8c1d8e, v111
	v_add_f32_e32 v47, v47, v48
	v_mov_b32_e32 v48, v205
	v_add_f32_e32 v49, v74, v49
	v_add_f32_e32 v50, v202, v50
	v_fma_f32 v74, v115, s10, -v203
	v_fmac_f32_e32 v204, 0x3dbcf732, v126
	v_fmac_f32_e32 v48, 0x3dbcf732, v128
	v_add_f32_e32 v74, v74, v49
	v_add_f32_e32 v49, v204, v50
	v_fma_f32 v50, v128, s2, -v205
	v_add_f32_e32 v48, v48, v208
	v_add_f32_e32 v50, v50, v74
	v_mul_lo_u16_e32 v74, 17, v61
	s_barrier
	s_and_saveexec_b64 s[2:3], vcc
	s_cbranch_execz .LBB0_7
; %bb.6:
	v_mul_f32_e32 v207, 0x3f6eb680, v80
	v_mul_f32_e32 v146, 0x3f3d2fb0, v80
	;; [unrolled: 1-line block ×21, first 2 shown]
	v_add_f32_e32 v80, v198, v80
	buffer_store_dword v77, off, s[20:23], 0 ; 4-byte Folded Spill
	v_mul_f32_e32 v77, 0x3f3d2fb0, v83
	v_mul_f32_e32 v209, 0x3dbcf732, v83
	v_mul_f32_e32 v211, 0xbf1a4643, v83
	v_mul_f32_e32 v213, 0xbf7ba420, v83
	v_mul_f32_e32 v215, 0xbf59a7d5, v83
	v_mul_f32_e32 v217, 0xbe8c1d8e, v83
	v_mul_f32_e32 v83, 0x3ee437d1, v83
	v_mul_f32_e32 v220, 0x3ee437d1, v88
	v_mul_f32_e32 v222, 0xbf1a4643, v88
	v_mov_b32_e32 v73, v59
	v_mov_b32_e32 v59, v57
	;; [unrolled: 1-line block ×3, first 2 shown]
	v_mul_f32_e32 v55, 0xbf7ba420, v88
	v_mul_f32_e32 v226, 0xbe8c1d8e, v88
	;; [unrolled: 1-line block ×5, first 2 shown]
	v_add_f32_e32 v84, v195, v84
	v_add_f32_e32 v80, v80, v52
	v_sub_f32_e32 v79, v79, v186
	v_mul_f32_e32 v219, 0x3ee437d1, v87
	v_mul_f32_e32 v221, 0xbf1a4643, v87
	v_mov_b32_e32 v132, v75
	v_mov_b32_e32 v75, v60
	;; [unrolled: 1-line block ×5, first 2 shown]
	v_mul_f32_e32 v54, 0xbf7ba420, v87
	v_mul_f32_e32 v225, 0xbe8c1d8e, v87
	;; [unrolled: 1-line block ×12, first 2 shown]
	v_add_f32_e32 v80, v84, v80
	v_add_f32_e32 v84, v196, v88
	v_sub_f32_e32 v83, v83, v187
	v_add_f32_e32 v79, v79, v51
	v_mul_f32_e32 v231, 0x3dbcf732, v94
	v_mul_f32_e32 v233, 0xbf7ba420, v94
	;; [unrolled: 1-line block ×14, first 2 shown]
	v_add_f32_e32 v80, v84, v80
	v_add_f32_e32 v84, v194, v95
	;; [unrolled: 1-line block ×3, first 2 shown]
	v_sub_f32_e32 v83, v87, v188
	v_mul_f32_e32 v243, 0xbe8c1d8e, v109
	v_mul_f32_e32 v245, 0xbf59a7d5, v109
	;; [unrolled: 1-line block ×7, first 2 shown]
	v_add_f32_e32 v80, v84, v80
	v_add_f32_e32 v84, v197, v110
	v_add_f32_e32 v79, v83, v79
	v_sub_f32_e32 v83, v94, v189
	v_mul_f32_e32 v255, 0xbf1a4643, v107
	v_mul_f32_e32 v195, 0xbe8c1d8e, v107
	;; [unrolled: 1-line block ×5, first 2 shown]
	v_add_f32_e32 v80, v84, v80
	v_mul_f32_e32 v84, 0xbf7ba420, v108
	v_mul_f32_e32 v197, 0x3f3d2fb0, v107
	;; [unrolled: 1-line block ×3, first 2 shown]
	v_add_f32_e32 v79, v83, v79
	v_sub_f32_e32 v83, v109, v190
	v_add_f32_e32 v84, v199, v84
	v_mul_f32_e32 v199, 0xbf59a7d5, v111
	v_mul_f32_e32 v187, 0x3ee437d1, v111
	;; [unrolled: 1-line block ×5, first 2 shown]
	v_add_f32_e32 v79, v83, v79
	v_sub_f32_e32 v83, v107, v192
	v_mul_f32_e32 v107, 0xbf7ba420, v111
	v_mul_f32_e32 v111, 0x3f3d2fb0, v111
	v_add_f32_e32 v80, v84, v80
	v_mul_f32_e32 v84, 0x3f3d2fb0, v115
	v_add_f32_e32 v79, v83, v79
	v_sub_f32_e32 v83, v111, v191
	v_add_f32_e32 v84, v200, v84
	v_add_f32_e32 v79, v83, v79
	v_mul_f32_e32 v83, 0xbe8c1d8e, v126
	v_add_f32_e32 v80, v84, v80
	v_mul_f32_e32 v84, 0xbe8c1d8e, v128
	v_sub_f32_e32 v83, v83, v193
	v_add_f32_e32 v84, v201, v84
	v_add_f32_e32 v79, v83, v79
	;; [unrolled: 1-line block ×8, first 2 shown]
	v_mul_f32_e32 v111, 0xbf7ba420, v128
	v_mul_f32_e32 v192, 0x3f6eb680, v128
	;; [unrolled: 1-line block ×4, first 2 shown]
	v_add_f32_e32 v83, v84, v83
	v_mul_f32_e32 v218, 0xbf1a4643, v128
	v_mul_f32_e32 v84, 0x3ee437d1, v128
	v_add_f32_e32 v128, v180, v242
	buffer_store_dword v77, off, s[20:23], 0 offset:4 ; 4-byte Folded Spill
	v_mov_b32_e32 v114, v53
	v_mul_f32_e32 v198, 0xbf1a4643, v108
	v_mov_b32_e32 v53, v76
	v_mov_b32_e32 v76, v63
	v_mul_f32_e32 v63, 0xbe8c1d8e, v108
	v_mov_b32_e32 v77, v64
	v_mul_f32_e32 v64, 0x3f6eb680, v108
	v_mul_f32_e32 v95, 0xbf59a7d5, v108
	;; [unrolled: 1-line block ×4, first 2 shown]
	v_add_f32_e32 v83, v128, v83
	v_add_f32_e32 v128, v182, v254
	v_mul_f32_e32 v186, 0xbf59a7d5, v115
	v_mul_f32_e32 v200, 0x3ee437d1, v115
	;; [unrolled: 1-line block ×6, first 2 shown]
	v_add_f32_e32 v83, v128, v83
	v_add_f32_e32 v108, v183, v108
	;; [unrolled: 1-line block ×7, first 2 shown]
	v_sub_f32_e32 v83, v205, v170
	v_add_f32_e32 v83, v83, v51
	v_sub_f32_e32 v108, v217, v171
	v_add_f32_e32 v83, v108, v83
	;; [unrolled: 2-line block ×5, first 2 shown]
	v_sub_f32_e32 v108, v197, v175
	v_mul_f32_e32 v190, 0xbf7ba420, v126
	v_mul_f32_e32 v191, 0x3f6eb680, v126
	;; [unrolled: 1-line block ×6, first 2 shown]
	v_add_f32_e32 v83, v108, v83
	v_sub_f32_e32 v107, v107, v176
	v_add_f32_e32 v83, v107, v83
	v_sub_f32_e32 v107, v126, v181
	v_add_f32_e32 v83, v107, v83
	v_add_f32_e32 v107, v159, v204
	;; [unrolled: 1-line block ×17, first 2 shown]
	v_sub_f32_e32 v107, v203, v152
	v_add_f32_e32 v107, v107, v51
	v_sub_f32_e32 v108, v215, v153
	v_add_f32_e32 v107, v108, v107
	;; [unrolled: 2-line block ×8, first 2 shown]
	v_add_f32_e32 v107, v139, v202
	v_add_f32_e32 v107, v107, v52
	;; [unrolled: 1-line block ×16, first 2 shown]
	v_sub_f32_e32 v107, v157, v134
	v_add_f32_e32 v107, v107, v51
	v_sub_f32_e32 v108, v213, v135
	v_add_f32_e32 v107, v108, v107
	;; [unrolled: 2-line block ×8, first 2 shown]
	v_add_f32_e32 v107, v119, v155
	v_add_f32_e32 v107, v107, v52
	;; [unrolled: 1-line block ×16, first 2 shown]
	buffer_load_dword v53, off, s[20:23], 0 ; 4-byte Folded Reload
	v_add_f32_e32 v107, v108, v107
	v_add_f32_e32 v108, v124, v236
	v_add_f32_e32 v107, v108, v107
	v_add_f32_e32 v108, v127, v248
	v_add_f32_e32 v107, v108, v107
	v_add_f32_e32 v64, v129, v64
	v_add_f32_e32 v64, v64, v107
	v_add_f32_e32 v107, v130, v201
	v_add_f32_e32 v64, v107, v64
	v_add_f32_e32 v107, v131, v177
	v_add_f32_e32 v108, v107, v64
	v_sub_f32_e32 v64, v148, v112
	v_add_f32_e32 v64, v64, v51
	v_sub_f32_e32 v107, v211, v113
	v_add_f32_e32 v64, v107, v64
	;; [unrolled: 2-line block ×3, first 2 shown]
	v_add_f32_e32 v13, v15, v13
	v_add_f32_e32 v13, v17, v13
	;; [unrolled: 1-line block ×4, first 2 shown]
	v_sub_f32_e32 v107, v235, v117
	v_add_f32_e32 v13, v21, v13
	v_add_f32_e32 v64, v107, v64
	v_sub_f32_e32 v107, v247, v118
	v_add_f32_e32 v13, v23, v13
	v_add_f32_e32 v64, v107, v64
	;; [unrolled: 3-line block ×5, first 2 shown]
	v_add_f32_e32 v64, v96, v146
	v_add_f32_e32 v5, v7, v5
	;; [unrolled: 1-line block ×25, first 2 shown]
	v_sub_f32_e32 v63, v133, v89
	v_add_f32_e32 v4, v4, v7
	v_add_f32_e32 v63, v63, v51
	v_sub_f32_e32 v64, v209, v90
	v_add_f32_e32 v4, v6, v4
	v_add_f32_e32 v63, v64, v63
	;; [unrolled: 3-line block ×3, first 2 shown]
	v_add_f32_e32 v63, v64, v63
	v_sub_f32_e32 v64, v233, v92
	v_add_f32_e32 v5, v11, v5
	v_add_f32_e32 v4, v10, v4
	;; [unrolled: 1-line block ×3, first 2 shown]
	v_sub_f32_e32 v64, v245, v93
	v_add_f32_e32 v5, v29, v5
	v_add_f32_e32 v4, v28, v4
	;; [unrolled: 1-line block ×3, first 2 shown]
	s_waitcnt vmcnt(0)
	v_sub_f32_e32 v54, v53, v56
	buffer_load_dword v53, off, s[20:23], 0 offset:4 ; 4-byte Folded Reload
	v_add_f32_e32 v54, v54, v51
	v_sub_f32_e32 v64, v195, v98
	v_add_f32_e32 v55, v57, v55
	v_add_f32_e32 v57, v82, v186
	v_add_f32_e32 v5, v31, v5
	v_add_f32_e32 v4, v30, v4
	v_add_f32_e32 v63, v64, v63
	v_sub_f32_e32 v64, v187, v100
	v_add_f32_e32 v55, v57, v55
	v_add_f32_e32 v57, v86, v111
	v_add_f32_e32 v5, v33, v5
	v_add_f32_e32 v4, v32, v4
	;; [unrolled: 6-line block ×3, first 2 shown]
	s_waitcnt vmcnt(0)
	v_sub_f32_e32 v56, v53, v58
	v_add_f32_e32 v54, v56, v54
	v_sub_f32_e32 v56, v219, v60
	v_add_f32_e32 v54, v56, v54
	;; [unrolled: 2-line block ×5, first 2 shown]
	v_sub_f32_e32 v56, v199, v81
	v_mov_b32_e32 v53, v114
	v_add_f32_e32 v54, v56, v54
	v_sub_f32_e32 v56, v190, v85
	v_add_f32_e32 v54, v56, v54
	v_add_lshl_u32 v6, v53, v74, 3
	ds_write2_b64 v6, v[4:5], v[54:55] offset1:1
	ds_write2_b64 v6, v[96:97], v[107:108] offset0:2 offset1:3
	ds_write2_b64 v6, v[94:95], v[87:88] offset0:4 offset1:5
	;; [unrolled: 1-line block ×7, first 2 shown]
	ds_write_b64 v6, v[2:3] offset:128
.LBB0_7:
	s_or_b64 exec, exec, s[2:3]
	v_mad_u64_u32 v[16:17], s[4:5], v61, 56, s[8:9]
	s_load_dwordx4 s[0:3], s[0:1], 0x0
	s_waitcnt lgkmcnt(0)
	s_barrier
	global_load_dwordx4 v[12:15], v[16:17], off
	global_load_dwordx4 v[8:11], v[16:17], off offset:16
	global_load_dwordx4 v[4:7], v[16:17], off offset:32
	global_load_dwordx2 v[32:33], v[16:17], off offset:48
	v_add_lshl_u32 v75, v53, v61, 3
	ds_read2_b64 v[16:19], v75 offset1:17
	ds_read2_b64 v[20:23], v75 offset0:34 offset1:51
	ds_read2_b64 v[24:27], v75 offset0:68 offset1:85
	;; [unrolled: 1-line block ×3, first 2 shown]
	v_lshl_add_u32 v73, v61, 3, v72
	s_waitcnt vmcnt(3) lgkmcnt(3)
	v_mul_f32_e32 v34, v19, v13
	v_mul_f32_e32 v35, v18, v13
	s_waitcnt lgkmcnt(2)
	v_mul_f32_e32 v51, v21, v15
	v_mul_f32_e32 v52, v20, v15
	s_waitcnt vmcnt(2)
	v_mul_f32_e32 v53, v23, v9
	v_mul_f32_e32 v54, v22, v9
	s_waitcnt lgkmcnt(1)
	v_mul_f32_e32 v55, v25, v11
	v_mul_f32_e32 v56, v24, v11
	s_waitcnt vmcnt(1)
	;; [unrolled: 6-line block ×3, first 2 shown]
	v_mul_f32_e32 v63, v31, v33
	v_mul_f32_e32 v64, v30, v33
	v_fma_f32 v18, v18, v12, -v34
	v_fmac_f32_e32 v35, v19, v12
	v_fma_f32 v19, v20, v14, -v51
	v_fmac_f32_e32 v52, v21, v14
	;; [unrolled: 2-line block ×7, first 2 shown]
	v_sub_f32_e32 v21, v16, v21
	v_sub_f32_e32 v25, v17, v56
	;; [unrolled: 1-line block ×8, first 2 shown]
	v_fma_f32 v16, v16, 2.0, -v21
	v_fma_f32 v17, v17, 2.0, -v25
	;; [unrolled: 1-line block ×8, first 2 shown]
	v_sub_f32_e32 v51, v21, v26
	v_add_f32_e32 v52, v25, v23
	v_add_f32_e32 v54, v27, v24
	v_sub_f32_e32 v19, v16, v19
	v_sub_f32_e32 v29, v17, v29
	;; [unrolled: 1-line block ×5, first 2 shown]
	v_fma_f32 v21, v21, 2.0, -v51
	v_fma_f32 v55, v25, 2.0, -v52
	;; [unrolled: 1-line block ×5, first 2 shown]
	v_sub_f32_e32 v26, v19, v23
	v_add_f32_e32 v27, v29, v20
	v_fma_f32 v31, v22, 2.0, -v53
	v_mov_b32_e32 v28, v51
	v_fma_f32 v17, v17, 2.0, -v29
	v_mov_b32_e32 v24, v21
	v_mov_b32_e32 v25, v55
	v_sub_f32_e32 v22, v16, v18
	v_fma_f32 v18, v19, 2.0, -v26
	v_fma_f32 v19, v29, 2.0, -v27
	v_mov_b32_e32 v29, v52
	v_fma_f32 v30, v30, 2.0, -v23
	v_fmac_f32_e32 v28, 0x3f3504f3, v53
	v_fmac_f32_e32 v24, 0xbf3504f3, v31
	;; [unrolled: 1-line block ×4, first 2 shown]
	v_sub_f32_e32 v23, v17, v30
	v_fmac_f32_e32 v24, 0xbf3504f3, v56
	v_fmac_f32_e32 v25, 0x3f3504f3, v31
	v_fmac_f32_e32 v28, 0xbf3504f3, v54
	v_fmac_f32_e32 v29, 0x3f3504f3, v53
	v_fma_f32 v34, v16, 2.0, -v22
	v_fma_f32 v35, v17, 2.0, -v23
	;; [unrolled: 1-line block ×6, first 2 shown]
	ds_write2_b64 v73, v[34:35], v[16:17] offset1:17
	ds_write2_b64 v73, v[18:19], v[20:21] offset0:34 offset1:51
	ds_write2_b64 v73, v[22:23], v[24:25] offset0:68 offset1:85
	;; [unrolled: 1-line block ×3, first 2 shown]
	s_waitcnt lgkmcnt(0)
	s_barrier
	s_and_saveexec_b64 s[4:5], vcc
	s_cbranch_execz .LBB0_9
; %bb.8:
	global_load_dwordx2 v[30:31], v62, s[6:7] offset:1088
	s_add_u32 s8, s6, 0x440
	s_addc_u32 s9, s7, 0
	global_load_dwordx2 v[59:60], v62, s[8:9] offset:64
	global_load_dwordx2 v[96:97], v62, s[8:9] offset:128
	;; [unrolled: 1-line block ×14, first 2 shown]
	ds_read_b64 v[51:52], v71
	global_load_dwordx2 v[122:123], v62, s[8:9] offset:960
	global_load_dwordx2 v[124:125], v62, s[8:9] offset:1024
	s_waitcnt vmcnt(16) lgkmcnt(0)
	v_mul_f32_e32 v53, v52, v31
	v_mul_f32_e32 v54, v51, v31
	v_fma_f32 v53, v51, v30, -v53
	v_fmac_f32_e32 v54, v52, v30
	ds_write_b64 v71, v[53:54]
	ds_read2_b64 v[51:54], v73 offset0:8 offset1:16
	ds_read2_b64 v[55:58], v73 offset0:24 offset1:32
	;; [unrolled: 1-line block ×7, first 2 shown]
	s_waitcnt vmcnt(15) lgkmcnt(6)
	v_mul_f32_e32 v30, v52, v60
	v_mul_f32_e32 v31, v51, v60
	s_waitcnt vmcnt(14)
	v_mul_f32_e32 v63, v54, v97
	v_mul_f32_e32 v60, v53, v97
	s_waitcnt vmcnt(13) lgkmcnt(5)
	v_mul_f32_e32 v64, v56, v99
	v_mul_f32_e32 v97, v55, v99
	s_waitcnt vmcnt(12)
	v_mul_f32_e32 v126, v58, v101
	v_mul_f32_e32 v99, v57, v101
	;; [unrolled: 6-line block ×6, first 2 shown]
	v_fma_f32 v30, v51, v59, -v30
	v_fmac_f32_e32 v31, v52, v59
	v_fma_f32 v59, v53, v96, -v63
	v_fmac_f32_e32 v60, v54, v96
	v_fma_f32 v96, v55, v98, -v64
	v_fmac_f32_e32 v97, v56, v98
	v_fma_f32 v98, v57, v100, -v126
	v_fmac_f32_e32 v99, v58, v100
	v_fma_f32 v100, v76, v102, -v127
	v_fmac_f32_e32 v101, v77, v102
	v_fma_f32 v102, v78, v104, -v128
	v_fmac_f32_e32 v103, v79, v104
	v_fma_f32 v104, v80, v106, -v129
	v_fmac_f32_e32 v105, v81, v106
	v_fma_f32 v106, v82, v108, -v130
	v_fmac_f32_e32 v107, v83, v108
	v_fma_f32 v108, v84, v110, -v131
	v_fmac_f32_e32 v109, v85, v110
	v_fma_f32 v110, v86, v112, -v132
	v_fmac_f32_e32 v111, v87, v112
	v_fma_f32 v112, v88, v114, -v133
	v_fmac_f32_e32 v113, v89, v114
	v_fma_f32 v114, v90, v116, -v134
	v_fmac_f32_e32 v115, v91, v116
	ds_write2_b64 v73, v[30:31], v[59:60] offset0:8 offset1:16
	ds_write2_b64 v73, v[96:97], v[98:99] offset0:24 offset1:32
	;; [unrolled: 1-line block ×6, first 2 shown]
	ds_read2_b64 v[51:54], v73 offset0:120 offset1:128
	s_waitcnt vmcnt(3) lgkmcnt(7)
	v_mul_f32_e32 v135, v93, v119
	v_mul_f32_e32 v117, v92, v119
	s_waitcnt vmcnt(2)
	v_mul_f32_e32 v119, v95, v121
	v_mul_f32_e32 v31, v94, v121
	v_fma_f32 v116, v92, v118, -v135
	v_fmac_f32_e32 v117, v93, v118
	v_fma_f32 v30, v94, v120, -v119
	v_fmac_f32_e32 v31, v95, v120
	ds_write2_b64 v73, v[116:117], v[30:31] offset0:104 offset1:112
	s_waitcnt vmcnt(1) lgkmcnt(1)
	v_mul_f32_e32 v30, v52, v123
	v_mul_f32_e32 v31, v51, v123
	v_fma_f32 v30, v51, v122, -v30
	v_fmac_f32_e32 v31, v52, v122
	s_waitcnt vmcnt(0)
	v_mul_f32_e32 v51, v54, v125
	v_mul_f32_e32 v52, v53, v125
	v_fma_f32 v51, v53, v124, -v51
	v_fmac_f32_e32 v52, v54, v124
	ds_write2_b64 v73, v[30:31], v[51:52] offset0:120 offset1:128
.LBB0_9:
	s_or_b64 exec, exec, s[4:5]
	s_waitcnt lgkmcnt(0)
	s_barrier
	s_and_saveexec_b64 s[4:5], vcc
	s_cbranch_execz .LBB0_11
; %bb.10:
	ds_read_b64 v[34:35], v71
	ds_read2_b64 v[16:19], v73 offset0:8 offset1:16
	ds_read2_b64 v[20:23], v73 offset0:24 offset1:32
	;; [unrolled: 1-line block ×8, first 2 shown]
	s_waitcnt lgkmcnt(4)
	v_mov_b32_e32 v44, v38
	v_mov_b32_e32 v43, v37
	s_waitcnt lgkmcnt(2)
	v_mov_b32_e32 v46, v50
	v_mov_b32_e32 v45, v49
	;; [unrolled: 1-line block ×6, first 2 shown]
	s_waitcnt lgkmcnt(1)
	v_mov_b32_e32 v39, v51
	v_mov_b32_e32 v40, v52
	;; [unrolled: 1-line block ×6, first 2 shown]
.LBB0_11:
	s_or_b64 exec, exec, s[4:5]
	s_waitcnt lgkmcnt(0)
	s_barrier
	s_and_saveexec_b64 s[4:5], vcc
	s_cbranch_execz .LBB0_13
; %bb.12:
	v_add_f32_e32 v63, v3, v17
	v_mul_f32_e32 v92, 0xbf7ba420, v63
	v_add_f32_e32 v64, v1, v19
	v_sub_f32_e32 v76, v16, v2
	v_mov_b32_e32 v30, v92
	v_mul_f32_e32 v93, 0x3f6eb680, v64
	v_fmac_f32_e32 v30, 0x3e3c28d5, v76
	v_sub_f32_e32 v77, v18, v0
	v_mov_b32_e32 v31, v93
	v_add_f32_e32 v118, v38, v21
	v_add_f32_e32 v30, v35, v30
	v_fmac_f32_e32 v31, 0xbeb8f4ab, v77
	v_mul_f32_e32 v94, 0xbf59a7d5, v118
	v_add_f32_e32 v30, v31, v30
	v_sub_f32_e32 v78, v20, v37
	v_mov_b32_e32 v31, v94
	v_add_f32_e32 v119, v40, v23
	v_fmac_f32_e32 v31, 0x3f06c442, v78
	v_mul_f32_e32 v95, 0x3f3d2fb0, v119
	v_add_f32_e32 v30, v31, v30
	v_sub_f32_e32 v79, v22, v39
	v_mov_b32_e32 v31, v95
	;; [unrolled: 6-line block ×6, first 2 shown]
	v_sub_f32_e32 v124, v17, v3
	v_fmac_f32_e32 v31, 0xbf7ee86f, v83
	v_mul_f32_e32 v100, 0xbe3c28d5, v124
	v_sub_f32_e32 v125, v19, v1
	v_add_f32_e32 v31, v31, v30
	v_add_f32_e32 v84, v2, v16
	v_mov_b32_e32 v30, v100
	v_mul_f32_e32 v101, 0x3eb8f4ab, v125
	v_fmac_f32_e32 v30, 0xbf7ba420, v84
	v_add_f32_e32 v85, v0, v18
	v_mov_b32_e32 v51, v101
	v_sub_f32_e32 v126, v21, v38
	v_add_f32_e32 v30, v34, v30
	v_fmac_f32_e32 v51, 0x3f6eb680, v85
	v_mul_f32_e32 v102, 0xbf06c442, v126
	v_add_f32_e32 v30, v51, v30
	v_add_f32_e32 v86, v37, v20
	v_mov_b32_e32 v51, v102
	v_sub_f32_e32 v127, v23, v40
	v_fmac_f32_e32 v51, 0xbf59a7d5, v86
	v_mul_f32_e32 v103, 0x3f2c7751, v127
	v_add_f32_e32 v30, v51, v30
	v_add_f32_e32 v87, v39, v22
	v_mov_b32_e32 v51, v103
	v_sub_f32_e32 v128, v25, v42
	;; [unrolled: 6-line block ×5, first 2 shown]
	v_fmac_f32_e32 v51, 0xbe8c1d8e, v90
	v_mul_f32_e32 v107, 0x3f7ee86f, v131
	v_add_f32_e32 v30, v51, v30
	v_add_f32_e32 v91, v49, v47
	v_mov_b32_e32 v51, v107
	v_fmac_f32_e32 v51, 0x3dbcf732, v91
	v_mul_f32_e32 v108, 0xbf59a7d5, v63
	v_add_f32_e32 v30, v51, v30
	v_mov_b32_e32 v51, v108
	v_mul_f32_e32 v109, 0x3ee437d1, v64
	v_fmac_f32_e32 v51, 0x3f06c442, v76
	v_mov_b32_e32 v52, v109
	v_add_f32_e32 v51, v35, v51
	v_fmac_f32_e32 v52, 0xbf65296c, v77
	v_mul_f32_e32 v110, 0x3dbcf732, v118
	v_add_f32_e32 v51, v52, v51
	v_mov_b32_e32 v52, v110
	v_fmac_f32_e32 v52, 0x3f7ee86f, v78
	v_mul_f32_e32 v111, 0xbf1a4643, v119
	v_add_f32_e32 v51, v52, v51
	v_mov_b32_e32 v52, v111
	v_fmac_f32_e32 v52, 0xbf4c4adb, v79
	v_mul_f32_e32 v112, 0x3f6eb680, v120
	v_add_f32_e32 v51, v52, v51
	v_mov_b32_e32 v52, v112
	v_fmac_f32_e32 v52, 0x3eb8f4ab, v80
	v_mul_f32_e32 v113, 0xbf7ba420, v121
	v_add_f32_e32 v51, v52, v51
	v_mov_b32_e32 v52, v113
	v_fmac_f32_e32 v52, 0x3e3c28d5, v81
	v_mul_f32_e32 v114, 0x3f3d2fb0, v122
	v_add_f32_e32 v51, v52, v51
	v_mov_b32_e32 v52, v114
	v_fmac_f32_e32 v52, 0xbf2c7751, v82
	v_mul_f32_e32 v115, 0xbe8c1d8e, v123
	v_add_f32_e32 v51, v52, v51
	v_mov_b32_e32 v52, v115
	v_fmac_f32_e32 v52, 0x3f763a35, v83
	v_mul_f32_e32 v132, 0xbf06c442, v124
	v_add_f32_e32 v52, v52, v51
	v_mov_b32_e32 v51, v132
	v_mul_f32_e32 v133, 0x3f65296c, v125
	v_fmac_f32_e32 v51, 0xbf59a7d5, v84
	v_mov_b32_e32 v53, v133
	v_add_f32_e32 v51, v34, v51
	v_fmac_f32_e32 v53, 0x3ee437d1, v85
	v_mul_f32_e32 v134, 0xbf7ee86f, v126
	v_add_f32_e32 v51, v53, v51
	v_mov_b32_e32 v53, v134
	v_fmac_f32_e32 v53, 0x3dbcf732, v86
	v_mul_f32_e32 v135, 0x3f4c4adb, v127
	v_add_f32_e32 v51, v53, v51
	v_mov_b32_e32 v53, v135
	v_fmac_f32_e32 v53, 0xbf1a4643, v87
	v_mul_f32_e32 v136, 0xbeb8f4ab, v128
	v_add_f32_e32 v51, v53, v51
	v_mov_b32_e32 v53, v136
	v_fmac_f32_e32 v53, 0x3f6eb680, v88
	v_mul_f32_e32 v137, 0xbe3c28d5, v129
	v_add_f32_e32 v51, v53, v51
	v_mov_b32_e32 v53, v137
	v_fmac_f32_e32 v53, 0xbf7ba420, v89
	v_mul_f32_e32 v138, 0x3f2c7751, v130
	v_add_f32_e32 v51, v53, v51
	v_mov_b32_e32 v53, v138
	v_fmac_f32_e32 v53, 0x3f3d2fb0, v90
	v_mul_f32_e32 v139, 0xbf763a35, v131
	;; [unrolled: 32-line block ×4, first 2 shown]
	v_add_f32_e32 v53, v55, v53
	v_mov_b32_e32 v55, v155
	v_fmac_f32_e32 v55, 0x3ee437d1, v91
	v_mul_f32_e32 v156, 0xbe8c1d8e, v63
	v_add_f32_e32 v53, v55, v53
	v_mov_b32_e32 v55, v156
	v_mul_f32_e32 v157, 0xbf59a7d5, v64
	v_fmac_f32_e32 v55, 0x3f763a35, v76
	v_mov_b32_e32 v56, v157
	v_add_f32_e32 v55, v35, v55
	v_fmac_f32_e32 v56, 0xbf06c442, v77
	v_mul_f32_e32 v158, 0x3f3d2fb0, v118
	v_add_f32_e32 v55, v56, v55
	v_mov_b32_e32 v56, v158
	v_fmac_f32_e32 v56, 0xbf2c7751, v78
	v_mul_f32_e32 v159, 0x3ee437d1, v119
	v_add_f32_e32 v55, v56, v55
	v_mov_b32_e32 v56, v159
	;; [unrolled: 4-line block ×3, first 2 shown]
	v_fmac_f32_e32 v56, 0x3e3c28d5, v80
	v_mul_f32_e32 v161, 0x3dbcf732, v121
	v_add_f32_e32 v17, v17, v35
	v_add_f32_e32 v55, v56, v55
	v_mov_b32_e32 v56, v161
	v_add_f32_e32 v17, v19, v17
	v_fmac_f32_e32 v56, 0xbf7ee86f, v81
	v_mul_f32_e32 v162, 0x3f6eb680, v122
	v_add_f32_e32 v17, v21, v17
	v_add_f32_e32 v55, v56, v55
	v_mov_b32_e32 v56, v162
	v_add_f32_e32 v17, v23, v17
	;; [unrolled: 6-line block ×3, first 2 shown]
	v_fmac_f32_e32 v56, 0x3f4c4adb, v83
	v_mul_f32_e32 v164, 0xbf763a35, v124
	v_add_f32_e32 v17, v29, v17
	v_add_f32_e32 v56, v56, v55
	v_mov_b32_e32 v55, v164
	v_mul_f32_e32 v165, 0x3f06c442, v125
	v_add_f32_e32 v17, v48, v17
	v_fmac_f32_e32 v55, 0xbe8c1d8e, v84
	v_mov_b32_e32 v57, v165
	v_add_f32_e32 v17, v50, v17
	v_add_f32_e32 v55, v34, v55
	v_fmac_f32_e32 v57, 0xbf59a7d5, v85
	v_mul_f32_e32 v166, 0x3f2c7751, v126
	v_add_f32_e32 v17, v46, v17
	v_add_f32_e32 v55, v57, v55
	v_mov_b32_e32 v57, v166
	v_add_f32_e32 v17, v44, v17
	v_fmac_f32_e32 v57, 0x3f3d2fb0, v86
	v_mul_f32_e32 v167, 0xbf65296c, v127
	v_add_f32_e32 v17, v42, v17
	v_add_f32_e32 v55, v57, v55
	v_mov_b32_e32 v57, v167
	v_add_f32_e32 v17, v40, v17
	v_fmac_f32_e32 v57, 0x3ee437d1, v87
	v_mul_f32_e32 v168, 0xbe3c28d5, v128
	v_add_f32_e32 v17, v38, v17
	v_add_f32_e32 v55, v57, v55
	v_mov_b32_e32 v57, v168
	v_add_f32_e32 v1, v1, v17
	v_fmac_f32_e32 v57, 0xbf7ba420, v88
	v_mul_f32_e32 v169, 0x3f7ee86f, v129
	v_add_f32_e32 v1, v3, v1
	v_add_f32_e32 v3, v16, v34
	v_add_f32_e32 v55, v57, v55
	v_mov_b32_e32 v57, v169
	v_add_f32_e32 v3, v18, v3
	v_fmac_f32_e32 v57, 0x3dbcf732, v89
	v_mul_f32_e32 v170, 0xbeb8f4ab, v130
	v_add_f32_e32 v3, v20, v3
	v_add_f32_e32 v55, v57, v55
	v_mov_b32_e32 v57, v170
	v_add_f32_e32 v3, v22, v3
	v_fmac_f32_e32 v57, 0x3f6eb680, v90
	v_mul_f32_e32 v171, 0xbf4c4adb, v131
	v_add_f32_e32 v3, v24, v3
	v_add_f32_e32 v55, v57, v55
	;; [unrolled: 6-line block ×3, first 2 shown]
	v_mov_b32_e32 v57, v172
	v_mul_f32_e32 v173, 0xbf7ba420, v64
	v_add_f32_e32 v3, v47, v3
	v_fmac_f32_e32 v57, 0x3f7ee86f, v76
	v_mov_b32_e32 v58, v173
	v_add_f32_e32 v3, v49, v3
	v_add_f32_e32 v57, v35, v57
	v_fmac_f32_e32 v58, 0x3e3c28d5, v77
	v_mul_f32_e32 v174, 0xbe8c1d8e, v118
	v_add_f32_e32 v3, v45, v3
	v_add_f32_e32 v57, v58, v57
	v_mov_b32_e32 v58, v174
	v_add_f32_e32 v3, v43, v3
	v_fmac_f32_e32 v58, 0xbf763a35, v78
	v_mul_f32_e32 v175, 0x3f6eb680, v119
	v_add_f32_e32 v3, v41, v3
	v_add_f32_e32 v57, v58, v57
	v_mov_b32_e32 v58, v175
	;; [unrolled: 6-line block ×3, first 2 shown]
	v_add_f32_e32 v0, v0, v3
	v_fmac_f32_e32 v92, 0xbe3c28d5, v76
	v_fmac_f32_e32 v58, 0x3f65296c, v80
	v_mul_f32_e32 v177, 0xbf59a7d5, v121
	v_add_f32_e32 v0, v2, v0
	v_add_f32_e32 v2, v35, v92
	v_fmac_f32_e32 v93, 0x3eb8f4ab, v77
	v_add_f32_e32 v57, v58, v57
	v_mov_b32_e32 v58, v177
	v_add_f32_e32 v2, v93, v2
	v_fmac_f32_e32 v94, 0xbf06c442, v78
	v_fmac_f32_e32 v58, 0x3f06c442, v81
	v_mul_f32_e32 v178, 0xbf1a4643, v122
	v_add_f32_e32 v2, v94, v2
	v_fmac_f32_e32 v95, 0x3f2c7751, v79
	v_add_f32_e32 v57, v58, v57
	v_mov_b32_e32 v58, v178
	v_add_f32_e32 v2, v95, v2
	v_fmac_f32_e32 v96, 0xbf4c4adb, v80
	v_fmac_f32_e32 v58, 0xbf4c4adb, v82
	v_mul_f32_e32 v179, 0x3f3d2fb0, v123
	v_add_f32_e32 v2, v96, v2
	v_fmac_f32_e32 v97, 0x3f65296c, v81
	v_add_f32_e32 v57, v58, v57
	v_mov_b32_e32 v58, v179
	v_add_f32_e32 v2, v97, v2
	v_fmac_f32_e32 v98, 0xbf763a35, v82
	s_mov_b32 s8, 0xbf7ba420
	v_fmac_f32_e32 v58, 0xbf2c7751, v83
	v_mul_f32_e32 v180, 0xbf7ee86f, v124
	v_add_f32_e32 v2, v98, v2
	v_fmac_f32_e32 v99, 0x3f7ee86f, v83
	s_mov_b32 s10, 0x3f6eb680
	v_add_f32_e32 v58, v58, v57
	v_mov_b32_e32 v57, v180
	v_mul_f32_e32 v181, 0xbe3c28d5, v125
	v_add_f32_e32 v3, v99, v2
	v_fma_f32 v2, v84, s8, -v100
	s_mov_b32 s9, 0xbf59a7d5
	v_fmac_f32_e32 v57, 0x3dbcf732, v84
	v_mov_b32_e32 v59, v181
	v_add_f32_e32 v2, v34, v2
	v_fma_f32 v16, v85, s10, -v101
	s_mov_b32 s14, 0x3f3d2fb0
	v_add_f32_e32 v57, v34, v57
	v_fmac_f32_e32 v59, 0xbf7ba420, v85
	v_mul_f32_e32 v182, 0x3f763a35, v126
	v_add_f32_e32 v2, v16, v2
	v_fma_f32 v16, v86, s9, -v102
	v_add_f32_e32 v57, v59, v57
	v_mov_b32_e32 v59, v182
	v_add_f32_e32 v2, v16, v2
	v_fma_f32 v16, v87, s14, -v103
	s_mov_b32 s15, 0x3ee437d1
	v_fmac_f32_e32 v59, 0xbe8c1d8e, v86
	v_mul_f32_e32 v183, 0x3eb8f4ab, v127
	v_add_f32_e32 v2, v16, v2
	v_fma_f32 v16, v88, s11, -v104
	s_mov_b32 s16, 0xbe8c1d8e
	v_add_f32_e32 v57, v59, v57
	v_mov_b32_e32 v59, v183
	v_add_f32_e32 v2, v16, v2
	v_fma_f32 v16, v89, s15, -v105
	s_mov_b32 s17, 0x3dbcf732
	v_fmac_f32_e32 v59, 0x3f6eb680, v87
	v_mul_f32_e32 v184, 0xbf65296c, v128
	v_add_f32_e32 v2, v16, v2
	v_fma_f32 v16, v90, s16, -v106
	v_add_f32_e32 v57, v59, v57
	v_mov_b32_e32 v59, v184
	v_add_f32_e32 v2, v16, v2
	v_fma_f32 v16, v91, s17, -v107
	v_fmac_f32_e32 v108, 0xbf06c442, v76
	v_fmac_f32_e32 v59, 0x3ee437d1, v88
	v_mul_f32_e32 v185, 0xbf06c442, v129
	v_add_f32_e32 v2, v16, v2
	v_add_f32_e32 v16, v35, v108
	v_fmac_f32_e32 v109, 0x3f65296c, v77
	v_add_f32_e32 v57, v59, v57
	v_mov_b32_e32 v59, v185
	v_add_f32_e32 v16, v109, v16
	v_fmac_f32_e32 v110, 0xbf7ee86f, v78
	v_fmac_f32_e32 v59, 0xbf59a7d5, v89
	v_mul_f32_e32 v186, 0x3f4c4adb, v130
	v_add_f32_e32 v16, v110, v16
	v_fmac_f32_e32 v111, 0x3f4c4adb, v79
	v_add_f32_e32 v57, v59, v57
	v_mov_b32_e32 v59, v186
	v_add_f32_e32 v16, v111, v16
	v_fmac_f32_e32 v112, 0xbeb8f4ab, v80
	v_fmac_f32_e32 v59, 0xbf1a4643, v90
	v_mul_f32_e32 v187, 0x3f2c7751, v131
	v_add_f32_e32 v16, v112, v16
	v_fmac_f32_e32 v113, 0xbe3c28d5, v81
	v_add_f32_e32 v57, v59, v57
	v_mov_b32_e32 v59, v187
	v_add_f32_e32 v16, v113, v16
	v_fmac_f32_e32 v114, 0x3f2c7751, v82
	v_fmac_f32_e32 v59, 0x3f3d2fb0, v91
	v_mul_f32_e32 v188, 0x3ee437d1, v63
	v_add_f32_e32 v16, v114, v16
	v_fmac_f32_e32 v115, 0xbf763a35, v83
	v_add_f32_e32 v57, v59, v57
	v_mov_b32_e32 v59, v188
	v_mul_f32_e32 v189, 0xbf1a4643, v64
	v_add_f32_e32 v17, v115, v16
	v_fma_f32 v16, v84, s9, -v132
	v_fmac_f32_e32 v59, 0x3f65296c, v76
	v_mov_b32_e32 v60, v189
	v_add_f32_e32 v16, v34, v16
	v_fma_f32 v18, v85, s15, -v133
	v_add_f32_e32 v59, v35, v59
	v_fmac_f32_e32 v60, 0x3f4c4adb, v77
	v_mul_f32_e32 v190, 0xbf7ba420, v118
	v_add_f32_e32 v16, v18, v16
	v_fma_f32 v18, v86, s17, -v134
	v_add_f32_e32 v59, v60, v59
	v_mov_b32_e32 v60, v190
	v_add_f32_e32 v16, v18, v16
	v_fma_f32 v18, v87, s11, -v135
	v_fmac_f32_e32 v60, 0xbe3c28d5, v78
	v_mul_f32_e32 v191, 0xbe8c1d8e, v119
	v_add_f32_e32 v16, v18, v16
	v_fma_f32 v18, v88, s10, -v136
	v_add_f32_e32 v59, v60, v59
	v_mov_b32_e32 v60, v191
	v_add_f32_e32 v16, v18, v16
	v_fma_f32 v18, v89, s8, -v137
	v_fmac_f32_e32 v60, 0xbf763a35, v79
	v_mul_f32_e32 v192, 0x3f3d2fb0, v120
	v_add_f32_e32 v16, v18, v16
	v_fma_f32 v18, v90, s14, -v138
	v_add_f32_e32 v59, v60, v59
	v_mov_b32_e32 v60, v192
	v_add_f32_e32 v16, v18, v16
	v_fma_f32 v18, v91, s16, -v139
	v_fmac_f32_e32 v140, 0xbf4c4adb, v76
	v_fmac_f32_e32 v60, 0xbf2c7751, v80
	v_mul_f32_e32 v193, 0x3f6eb680, v121
	v_add_f32_e32 v16, v18, v16
	v_add_f32_e32 v18, v35, v140
	v_fmac_f32_e32 v141, 0x3f763a35, v77
	v_add_f32_e32 v59, v60, v59
	v_mov_b32_e32 v60, v193
	v_add_f32_e32 v18, v141, v18
	v_fmac_f32_e32 v142, 0xbeb8f4ab, v78
	v_fmac_f32_e32 v60, 0x3eb8f4ab, v81
	v_mul_f32_e32 v194, 0x3dbcf732, v122
	v_add_f32_e32 v18, v142, v18
	v_fmac_f32_e32 v143, 0xbf06c442, v79
	v_add_f32_e32 v59, v60, v59
	v_mov_b32_e32 v60, v194
	v_add_f32_e32 v18, v143, v18
	v_fmac_f32_e32 v144, 0x3f7ee86f, v80
	v_fmac_f32_e32 v60, 0x3f7ee86f, v82
	v_mul_f32_e32 v195, 0xbf59a7d5, v123
	v_add_f32_e32 v18, v144, v18
	v_fmac_f32_e32 v145, 0xbf2c7751, v81
	v_add_f32_e32 v59, v60, v59
	v_mov_b32_e32 v60, v195
	v_add_f32_e32 v18, v145, v18
	v_fmac_f32_e32 v146, 0xbe3c28d5, v82
	v_fmac_f32_e32 v60, 0x3f06c442, v83
	v_mul_f32_e32 v196, 0xbf65296c, v124
	v_add_f32_e32 v18, v146, v18
	v_fmac_f32_e32 v147, 0x3f65296c, v83
	v_add_f32_e32 v60, v60, v59
	v_mov_b32_e32 v59, v196
	v_mul_f32_e32 v197, 0xbf4c4adb, v125
	v_add_f32_e32 v19, v147, v18
	v_fma_f32 v18, v84, s11, -v148
	v_fmac_f32_e32 v59, 0x3ee437d1, v84
	v_mov_b32_e32 v116, v197
	v_add_f32_e32 v18, v34, v18
	v_fma_f32 v20, v85, s16, -v149
	v_add_f32_e32 v59, v34, v59
	v_fmac_f32_e32 v116, 0xbf1a4643, v85
	v_mul_f32_e32 v198, 0x3e3c28d5, v126
	v_add_f32_e32 v18, v20, v18
	v_fma_f32 v20, v86, s10, -v150
	v_add_f32_e32 v59, v116, v59
	v_mov_b32_e32 v116, v198
	v_add_f32_e32 v18, v20, v18
	v_fma_f32 v20, v87, s9, -v151
	v_fmac_f32_e32 v116, 0xbf7ba420, v86
	v_mul_f32_e32 v199, 0x3f763a35, v127
	v_add_f32_e32 v18, v20, v18
	v_fma_f32 v20, v88, s17, -v152
	v_add_f32_e32 v59, v116, v59
	v_mov_b32_e32 v116, v199
	v_add_f32_e32 v18, v20, v18
	v_fma_f32 v20, v89, s14, -v153
	;; [unrolled: 64-line block ×3, first 2 shown]
	v_fmac_f32_e32 v117, 0x3e3c28d5, v79
	v_mul_f32_e32 v208, 0xbf59a7d5, v120
	v_add_f32_e32 v20, v22, v20
	v_fma_f32 v22, v90, s10, -v170
	v_add_f32_e32 v116, v117, v116
	v_mov_b32_e32 v117, v208
	v_add_f32_e32 v20, v22, v20
	v_fma_f32 v22, v91, s11, -v171
	v_fmac_f32_e32 v172, 0xbf7ee86f, v76
	v_fmac_f32_e32 v117, 0xbf06c442, v80
	v_mul_f32_e32 v209, 0xbe8c1d8e, v121
	v_add_f32_e32 v20, v22, v20
	v_add_f32_e32 v22, v35, v172
	v_fmac_f32_e32 v173, 0xbe3c28d5, v77
	v_add_f32_e32 v116, v117, v116
	v_mov_b32_e32 v117, v209
	v_add_f32_e32 v22, v173, v22
	v_fmac_f32_e32 v174, 0x3f763a35, v78
	v_fmac_f32_e32 v117, 0xbf763a35, v81
	v_mul_f32_e32 v210, 0x3ee437d1, v122
	v_add_f32_e32 v22, v174, v22
	v_fmac_f32_e32 v175, 0x3eb8f4ab, v79
	v_add_f32_e32 v116, v117, v116
	v_mov_b32_e32 v117, v210
	v_add_f32_e32 v22, v175, v22
	v_fmac_f32_e32 v176, 0xbf65296c, v80
	v_fmac_f32_e32 v117, 0xbf65296c, v82
	v_mul_f32_e32 v211, 0x3f6eb680, v123
	;; [unrolled: 8-line block ×3, first 2 shown]
	v_add_f32_e32 v22, v178, v22
	v_fmac_f32_e32 v179, 0x3f2c7751, v83
	v_add_f32_e32 v117, v117, v116
	v_mov_b32_e32 v116, v212
	v_mul_f32_e32 v213, 0xbf7ee86f, v125
	v_add_f32_e32 v23, v179, v22
	v_fma_f32 v22, v84, s17, -v180
	v_fmac_f32_e32 v116, 0x3f3d2fb0, v84
	v_mov_b32_e32 v214, v213
	v_add_f32_e32 v22, v34, v22
	v_fma_f32 v24, v85, s8, -v181
	v_add_f32_e32 v116, v34, v116
	v_fmac_f32_e32 v214, 0x3dbcf732, v85
	v_add_f32_e32 v22, v24, v22
	v_fma_f32 v24, v86, s16, -v182
	v_add_f32_e32 v116, v214, v116
	v_mul_f32_e32 v214, 0xbf4c4adb, v126
	v_add_f32_e32 v22, v24, v22
	v_fma_f32 v24, v87, s10, -v183
	v_mov_b32_e32 v215, v214
	v_add_f32_e32 v22, v24, v22
	v_fma_f32 v24, v88, s15, -v184
	v_fmac_f32_e32 v215, 0xbf1a4643, v86
	v_add_f32_e32 v22, v24, v22
	v_fma_f32 v24, v89, s9, -v185
	v_add_f32_e32 v116, v215, v116
	v_mul_f32_e32 v215, 0xbe3c28d5, v127
	v_add_f32_e32 v22, v24, v22
	v_fma_f32 v24, v90, s11, -v186
	v_mov_b32_e32 v216, v215
	v_add_f32_e32 v22, v24, v22
	v_fma_f32 v24, v91, s14, -v187
	v_fmac_f32_e32 v188, 0xbf65296c, v76
	v_fmac_f32_e32 v216, 0xbf7ba420, v87
	v_add_f32_e32 v22, v24, v22
	v_add_f32_e32 v24, v35, v188
	v_fmac_f32_e32 v189, 0xbf4c4adb, v77
	v_add_f32_e32 v116, v216, v116
	v_mul_f32_e32 v216, 0x3f06c442, v128
	v_add_f32_e32 v24, v189, v24
	v_fmac_f32_e32 v190, 0x3e3c28d5, v78
	v_mov_b32_e32 v217, v216
	v_add_f32_e32 v24, v190, v24
	v_fmac_f32_e32 v191, 0x3f763a35, v79
	v_fmac_f32_e32 v217, 0xbf59a7d5, v88
	v_add_f32_e32 v24, v191, v24
	v_fmac_f32_e32 v192, 0x3f2c7751, v80
	v_add_f32_e32 v116, v217, v116
	v_mul_f32_e32 v217, 0x3f763a35, v129
	v_add_f32_e32 v24, v192, v24
	v_fmac_f32_e32 v193, 0xbeb8f4ab, v81
	v_mov_b32_e32 v218, v217
	v_add_f32_e32 v24, v193, v24
	v_fmac_f32_e32 v194, 0xbf7ee86f, v82
	v_fmac_f32_e32 v218, 0xbe8c1d8e, v89
	v_add_f32_e32 v24, v194, v24
	v_fmac_f32_e32 v195, 0xbf06c442, v83
	v_add_f32_e32 v116, v218, v116
	v_mul_f32_e32 v218, 0x3f65296c, v130
	v_add_f32_e32 v25, v195, v24
	v_fma_f32 v24, v84, s15, -v196
	v_mov_b32_e32 v219, v218
	v_add_f32_e32 v24, v34, v24
	v_fma_f32 v26, v85, s11, -v197
	v_fmac_f32_e32 v219, 0x3ee437d1, v90
	v_add_f32_e32 v24, v26, v24
	v_fma_f32 v26, v86, s8, -v198
	v_add_f32_e32 v116, v219, v116
	v_mul_f32_e32 v219, 0x3eb8f4ab, v131
	v_add_f32_e32 v24, v26, v24
	v_fma_f32 v26, v87, s16, -v199
	v_mov_b32_e32 v220, v219
	v_add_f32_e32 v24, v26, v24
	v_fma_f32 v26, v88, s14, -v200
	v_fmac_f32_e32 v220, 0x3f6eb680, v91
	v_mul_f32_e32 v63, 0x3f6eb680, v63
	v_add_f32_e32 v24, v26, v24
	v_fma_f32 v26, v89, s10, -v201
	v_add_f32_e32 v116, v220, v116
	v_mov_b32_e32 v220, v63
	v_mul_f32_e32 v64, 0x3f3d2fb0, v64
	v_add_f32_e32 v24, v26, v24
	v_fma_f32 v26, v90, s17, -v202
	v_fmac_f32_e32 v220, 0x3eb8f4ab, v76
	v_mov_b32_e32 v221, v64
	v_add_f32_e32 v24, v26, v24
	v_fma_f32 v26, v91, s9, -v203
	v_fmac_f32_e32 v204, 0xbf2c7751, v76
	v_add_f32_e32 v220, v35, v220
	v_fmac_f32_e32 v221, 0x3f2c7751, v77
	v_add_f32_e32 v24, v26, v24
	v_add_f32_e32 v26, v35, v204
	v_fmac_f32_e32 v205, 0xbf7ee86f, v77
	v_add_f32_e32 v220, v221, v220
	v_mul_f32_e32 v221, 0x3ee437d1, v118
	v_add_f32_e32 v26, v205, v26
	v_fmac_f32_e32 v206, 0xbf4c4adb, v78
	v_mov_b32_e32 v118, v221
	v_add_f32_e32 v26, v206, v26
	v_fmac_f32_e32 v207, 0xbe3c28d5, v79
	v_fmac_f32_e32 v118, 0x3f65296c, v78
	v_add_f32_e32 v26, v207, v26
	v_fmac_f32_e32 v208, 0x3f06c442, v80
	v_add_f32_e32 v118, v118, v220
	v_mul_f32_e32 v220, 0x3dbcf732, v119
	v_add_f32_e32 v26, v208, v26
	v_fmac_f32_e32 v209, 0x3f763a35, v81
	v_mov_b32_e32 v119, v220
	v_add_f32_e32 v26, v209, v26
	v_fmac_f32_e32 v210, 0x3f65296c, v82
	v_fmac_f32_e32 v119, 0x3f7ee86f, v79
	v_mul_f32_e32 v120, 0xbe8c1d8e, v120
	v_add_f32_e32 v26, v210, v26
	v_fmac_f32_e32 v211, 0x3eb8f4ab, v83
	v_add_f32_e32 v118, v119, v118
	v_mov_b32_e32 v119, v120
	v_add_f32_e32 v27, v211, v26
	v_fma_f32 v26, v84, s14, -v212
	v_fmac_f32_e32 v119, 0x3f763a35, v80
	v_mul_f32_e32 v121, 0xbf1a4643, v121
	v_add_f32_e32 v26, v34, v26
	v_fma_f32 v28, v85, s17, -v213
	v_add_f32_e32 v118, v119, v118
	v_mov_b32_e32 v119, v121
	v_add_f32_e32 v26, v28, v26
	v_fma_f32 v28, v86, s11, -v214
	v_fmac_f32_e32 v119, 0x3f4c4adb, v81
	v_mul_f32_e32 v122, 0xbf59a7d5, v122
	v_add_f32_e32 v26, v28, v26
	v_fma_f32 v28, v87, s8, -v215
	;; [unrolled: 8-line block ×4, first 2 shown]
	v_fmac_f32_e32 v63, 0xbeb8f4ab, v76
	v_add_f32_e32 v119, v119, v118
	v_mov_b32_e32 v118, v124
	v_mul_f32_e32 v125, 0xbf2c7751, v125
	v_add_f32_e32 v26, v28, v26
	v_add_f32_e32 v28, v35, v63
	v_fmac_f32_e32 v64, 0xbf2c7751, v77
	v_fmac_f32_e32 v118, 0x3f6eb680, v84
	v_mov_b32_e32 v222, v125
	v_add_f32_e32 v28, v64, v28
	v_fmac_f32_e32 v221, 0xbf65296c, v78
	v_add_f32_e32 v118, v34, v118
	v_fmac_f32_e32 v222, 0x3f3d2fb0, v85
	v_mul_f32_e32 v126, 0xbf65296c, v126
	v_add_f32_e32 v28, v221, v28
	v_fmac_f32_e32 v220, 0xbf7ee86f, v79
	v_add_f32_e32 v118, v222, v118
	v_mov_b32_e32 v222, v126
	v_add_f32_e32 v28, v220, v28
	v_fmac_f32_e32 v120, 0xbf763a35, v80
	v_fmac_f32_e32 v222, 0x3ee437d1, v86
	v_mul_f32_e32 v127, 0xbf7ee86f, v127
	v_add_f32_e32 v28, v120, v28
	v_fmac_f32_e32 v121, 0xbf4c4adb, v81
	v_add_f32_e32 v118, v222, v118
	v_mov_b32_e32 v222, v127
	v_add_f32_e32 v28, v121, v28
	v_fmac_f32_e32 v122, 0xbf06c442, v82
	v_fmac_f32_e32 v222, 0x3dbcf732, v87
	v_mul_f32_e32 v128, 0xbf763a35, v128
	v_add_f32_e32 v28, v122, v28
	v_fmac_f32_e32 v123, 0xbe3c28d5, v83
	v_add_f32_e32 v118, v222, v118
	v_mov_b32_e32 v222, v128
	v_add_f32_e32 v29, v123, v28
	v_fma_f32 v28, v84, s10, -v124
	v_fmac_f32_e32 v222, 0xbe8c1d8e, v88
	v_mul_f32_e32 v129, 0xbf4c4adb, v129
	v_add_f32_e32 v28, v34, v28
	v_fma_f32 v34, v85, s14, -v125
	v_add_f32_e32 v118, v222, v118
	v_mov_b32_e32 v222, v129
	v_add_f32_e32 v28, v34, v28
	v_fma_f32 v34, v86, s15, -v126
	v_fmac_f32_e32 v222, 0xbf1a4643, v89
	v_mul_f32_e32 v130, 0xbf06c442, v130
	v_add_f32_e32 v28, v34, v28
	v_fma_f32 v34, v87, s17, -v127
	;; [unrolled: 8-line block ×3, first 2 shown]
	v_add_f32_e32 v118, v222, v118
	v_mov_b32_e32 v222, v131
	v_add_f32_e32 v28, v34, v28
	v_fma_f32 v34, v90, s9, -v130
	v_fmac_f32_e32 v222, 0xbf7ba420, v91
	v_add_f32_e32 v28, v34, v28
	v_fma_f32 v34, v91, s8, -v131
	v_add_f32_e32 v118, v222, v118
	v_add_f32_e32 v28, v34, v28
	v_lshl_add_u32 v34, v74, 3, v72
	ds_write2_b64 v34, v[0:1], v[118:119] offset1:1
	ds_write2_b64 v34, v[116:117], v[59:60] offset0:2 offset1:3
	ds_write2_b64 v34, v[57:58], v[55:56] offset0:4 offset1:5
	;; [unrolled: 1-line block ×7, first 2 shown]
	ds_write_b64 v34, v[28:29] offset:128
.LBB0_13:
	s_or_b64 exec, exec, s[4:5]
	s_waitcnt lgkmcnt(0)
	s_barrier
	ds_read2_b64 v[0:3], v75 offset1:17
	ds_read2_b64 v[16:19], v75 offset0:34 offset1:51
	ds_read2_b64 v[20:23], v75 offset0:68 offset1:85
	;; [unrolled: 1-line block ×3, first 2 shown]
	s_waitcnt lgkmcnt(3)
	v_mul_f32_e32 v28, v13, v3
	v_fmac_f32_e32 v28, v12, v2
	v_mul_f32_e32 v2, v13, v2
	s_waitcnt lgkmcnt(2)
	v_mul_f32_e32 v13, v9, v19
	v_mul_f32_e32 v9, v9, v18
	v_fmac_f32_e32 v13, v8, v18
	v_fma_f32 v8, v8, v19, -v9
	s_waitcnt lgkmcnt(1)
	v_mul_f32_e32 v9, v11, v21
	v_mul_f32_e32 v11, v11, v20
	v_fmac_f32_e32 v9, v10, v20
	v_fma_f32 v10, v10, v21, -v11
	v_mul_f32_e32 v11, v5, v23
	v_mul_f32_e32 v5, v5, v22
	v_fmac_f32_e32 v11, v4, v22
	v_fma_f32 v4, v4, v23, -v5
	s_waitcnt lgkmcnt(0)
	v_mul_f32_e32 v5, v7, v25
	v_mul_f32_e32 v7, v7, v24
	v_fma_f32 v2, v12, v3, -v2
	v_mul_f32_e32 v3, v15, v17
	v_mul_f32_e32 v12, v15, v16
	v_fmac_f32_e32 v5, v6, v24
	v_fma_f32 v6, v6, v25, -v7
	v_mul_f32_e32 v7, v33, v27
	v_fmac_f32_e32 v3, v14, v16
	v_fma_f32 v12, v14, v17, -v12
	v_fmac_f32_e32 v7, v32, v26
	v_mul_f32_e32 v14, v33, v26
	v_sub_f32_e32 v9, v0, v9
	v_sub_f32_e32 v10, v1, v10
	;; [unrolled: 1-line block ×6, first 2 shown]
	v_fma_f32 v14, v32, v27, -v14
	v_fma_f32 v0, v0, 2.0, -v9
	v_fma_f32 v3, v3, 2.0, -v5
	;; [unrolled: 1-line block ×4, first 2 shown]
	v_add_f32_e32 v18, v9, v6
	v_sub_f32_e32 v19, v10, v5
	v_fma_f32 v1, v1, 2.0, -v10
	v_fma_f32 v12, v12, 2.0, -v6
	v_sub_f32_e32 v4, v2, v4
	v_sub_f32_e32 v14, v8, v14
	v_sub_f32_e32 v16, v0, v3
	v_fma_f32 v6, v9, 2.0, -v18
	v_fma_f32 v9, v10, 2.0, -v19
	v_sub_f32_e32 v10, v15, v13
	v_fma_f32 v8, v8, 2.0, -v14
	v_fma_f32 v3, v0, 2.0, -v16
	;; [unrolled: 1-line block ×3, first 2 shown]
	v_add_f32_e32 v14, v11, v14
	v_sub_f32_e32 v15, v4, v7
	v_fma_f32 v7, v11, 2.0, -v14
	v_fma_f32 v11, v4, 2.0, -v15
	v_mov_b32_e32 v5, v9
	v_fmac_f32_e32 v5, 0xbf3504f3, v11
	v_fma_f32 v2, v2, 2.0, -v4
	v_sub_f32_e32 v12, v1, v12
	v_mov_b32_e32 v4, v6
	v_fmac_f32_e32 v5, 0xbf3504f3, v7
	v_sub_f32_e32 v8, v2, v8
	v_fmac_f32_e32 v4, 0xbf3504f3, v7
	v_fma_f32 v7, v9, 2.0, -v5
	v_sub_f32_e32 v9, v12, v10
	v_fma_f32 v17, v1, 2.0, -v12
	v_fma_f32 v1, v2, 2.0, -v8
	v_fmac_f32_e32 v4, 0x3f3504f3, v11
	v_fma_f32 v11, v12, 2.0, -v9
	v_mov_b32_e32 v12, v18
	v_mov_b32_e32 v13, v19
	v_sub_f32_e32 v0, v3, v0
	v_sub_f32_e32 v1, v17, v1
	v_fmac_f32_e32 v12, 0x3f3504f3, v14
	v_fmac_f32_e32 v13, 0x3f3504f3, v15
	v_fma_f32 v2, v3, 2.0, -v0
	v_fma_f32 v3, v17, 2.0, -v1
	;; [unrolled: 1-line block ×3, first 2 shown]
	v_add_f32_e32 v8, v16, v8
	v_fmac_f32_e32 v12, 0x3f3504f3, v15
	v_fmac_f32_e32 v13, 0xbf3504f3, v14
	v_fma_f32 v10, v16, 2.0, -v8
	v_fma_f32 v14, v18, 2.0, -v12
	;; [unrolled: 1-line block ×3, first 2 shown]
	ds_write2_b64 v73, v[2:3], v[6:7] offset1:17
	ds_write2_b64 v73, v[10:11], v[14:15] offset0:34 offset1:51
	ds_write2_b64 v73, v[0:1], v[4:5] offset0:68 offset1:85
	;; [unrolled: 1-line block ×3, first 2 shown]
	s_waitcnt lgkmcnt(0)
	s_barrier
	s_and_b64 exec, exec, vcc
	s_cbranch_execz .LBB0_15
; %bb.14:
	global_load_dwordx2 v[0:1], v62, s[6:7]
	ds_read_b64 v[4:5], v71
	v_mad_u64_u32 v[2:3], s[4:5], s2, v36, 0
	v_mad_u64_u32 v[6:7], s[4:5], s0, v61, 0
	s_waitcnt lgkmcnt(0)
	v_mad_u64_u32 v[8:9], s[2:3], s3, v36, v[3:4]
	s_mov_b32 s4, 0x1e1e1e1e
	s_mov_b32 s5, 0x3f7e1e1e
	v_mad_u64_u32 v[9:10], s[2:3], s1, v61, v[7:8]
	v_mov_b32_e32 v11, s13
	v_mov_b32_e32 v7, v9
	s_waitcnt vmcnt(0)
	v_mul_f32_e32 v3, v5, v1
	v_mul_f32_e32 v1, v4, v1
	v_fmac_f32_e32 v3, v4, v0
	v_fma_f32 v4, v0, v5, -v1
	v_cvt_f64_f32_e32 v[0:1], v3
	v_cvt_f64_f32_e32 v[4:5], v4
	v_mov_b32_e32 v3, v8
	v_mul_f64 v[8:9], v[0:1], s[4:5]
	v_mul_f64 v[4:5], v[4:5], s[4:5]
	v_lshlrev_b64 v[0:1], 3, v[2:3]
	v_lshlrev_b64 v[2:3], 3, v[6:7]
	v_add_co_u32_e32 v0, vcc, s12, v0
	v_addc_co_u32_e32 v1, vcc, v11, v1, vcc
	v_cvt_f32_f64_e32 v6, v[8:9]
	v_cvt_f32_f64_e32 v7, v[4:5]
	v_add_co_u32_e32 v2, vcc, v0, v2
	v_addc_co_u32_e32 v3, vcc, v1, v3, vcc
	global_store_dwordx2 v[2:3], v[6:7], off
	global_load_dwordx2 v[6:7], v62, s[6:7] offset:64
	ds_read2_b64 v[2:5], v73 offset0:8 offset1:16
	v_mad_u64_u32 v[8:9], s[2:3], s0, v224, 0
	s_waitcnt vmcnt(0) lgkmcnt(0)
	v_mul_f32_e32 v10, v3, v7
	v_mul_f32_e32 v7, v2, v7
	v_fmac_f32_e32 v10, v2, v6
	v_fma_f32 v6, v6, v3, -v7
	v_cvt_f64_f32_e32 v[2:3], v10
	v_cvt_f64_f32_e32 v[6:7], v6
	v_mad_u64_u32 v[9:10], s[2:3], s1, v224, v[9:10]
	v_mul_f64 v[2:3], v[2:3], s[4:5]
	v_mul_f64 v[6:7], v[6:7], s[4:5]
	v_lshlrev_b64 v[8:9], 3, v[8:9]
	v_cvt_f32_f64_e32 v2, v[2:3]
	v_cvt_f32_f64_e32 v3, v[6:7]
	v_add_co_u32_e32 v6, vcc, v0, v8
	v_addc_co_u32_e32 v7, vcc, v1, v9, vcc
	global_store_dwordx2 v[6:7], v[2:3], off
	global_load_dwordx2 v[2:3], v62, s[6:7] offset:128
	v_mad_u64_u32 v[6:7], s[2:3], s0, v70, 0
	s_waitcnt vmcnt(0)
	v_mul_f32_e32 v8, v5, v3
	v_mul_f32_e32 v3, v4, v3
	v_fmac_f32_e32 v8, v4, v2
	v_fma_f32 v4, v2, v5, -v3
	v_cvt_f64_f32_e32 v[2:3], v8
	v_cvt_f64_f32_e32 v[4:5], v4
	v_mad_u64_u32 v[7:8], s[2:3], s1, v70, v[7:8]
	v_mul_f64 v[2:3], v[2:3], s[4:5]
	v_mul_f64 v[4:5], v[4:5], s[4:5]
	v_lshlrev_b64 v[6:7], 3, v[6:7]
	v_mad_u64_u32 v[8:9], s[2:3], s0, v69, 0
	v_cvt_f32_f64_e32 v2, v[2:3]
	v_cvt_f32_f64_e32 v3, v[4:5]
	v_add_co_u32_e32 v4, vcc, v0, v6
	v_addc_co_u32_e32 v5, vcc, v1, v7, vcc
	global_store_dwordx2 v[4:5], v[2:3], off
	global_load_dwordx2 v[6:7], v62, s[6:7] offset:192
	ds_read2_b64 v[2:5], v73 offset0:24 offset1:32
	s_waitcnt vmcnt(0) lgkmcnt(0)
	v_mul_f32_e32 v10, v3, v7
	v_mul_f32_e32 v7, v2, v7
	v_fmac_f32_e32 v10, v2, v6
	v_fma_f32 v6, v6, v3, -v7
	v_cvt_f64_f32_e32 v[2:3], v10
	v_cvt_f64_f32_e32 v[6:7], v6
	v_mad_u64_u32 v[9:10], s[2:3], s1, v69, v[9:10]
	v_mul_f64 v[2:3], v[2:3], s[4:5]
	v_mul_f64 v[6:7], v[6:7], s[4:5]
	v_lshlrev_b64 v[8:9], 3, v[8:9]
	v_cvt_f32_f64_e32 v2, v[2:3]
	v_cvt_f32_f64_e32 v3, v[6:7]
	v_add_co_u32_e32 v6, vcc, v0, v8
	v_addc_co_u32_e32 v7, vcc, v1, v9, vcc
	global_store_dwordx2 v[6:7], v[2:3], off
	global_load_dwordx2 v[2:3], v62, s[6:7] offset:256
	v_mad_u64_u32 v[6:7], s[2:3], s0, v68, 0
	s_waitcnt vmcnt(0)
	v_mul_f32_e32 v8, v5, v3
	v_mul_f32_e32 v3, v4, v3
	v_fmac_f32_e32 v8, v4, v2
	v_fma_f32 v4, v2, v5, -v3
	v_cvt_f64_f32_e32 v[2:3], v8
	v_cvt_f64_f32_e32 v[4:5], v4
	v_mad_u64_u32 v[7:8], s[2:3], s1, v68, v[7:8]
	v_mul_f64 v[2:3], v[2:3], s[4:5]
	v_mul_f64 v[4:5], v[4:5], s[4:5]
	v_lshlrev_b64 v[6:7], 3, v[6:7]
	v_mad_u64_u32 v[8:9], s[2:3], s0, v67, 0
	v_cvt_f32_f64_e32 v2, v[2:3]
	v_cvt_f32_f64_e32 v3, v[4:5]
	v_add_co_u32_e32 v4, vcc, v0, v6
	v_addc_co_u32_e32 v5, vcc, v1, v7, vcc
	global_store_dwordx2 v[4:5], v[2:3], off
	global_load_dwordx2 v[6:7], v62, s[6:7] offset:320
	ds_read2_b64 v[2:5], v73 offset0:40 offset1:48
	;; [unrolled: 37-line block ×3, first 2 shown]
	s_waitcnt vmcnt(0) lgkmcnt(0)
	v_mul_f32_e32 v10, v3, v7
	v_mul_f32_e32 v7, v2, v7
	v_fmac_f32_e32 v10, v2, v6
	v_fma_f32 v6, v6, v3, -v7
	v_cvt_f64_f32_e32 v[2:3], v10
	v_cvt_f64_f32_e32 v[6:7], v6
	v_mad_u64_u32 v[9:10], s[2:3], s1, v65, v[9:10]
	v_mul_f64 v[2:3], v[2:3], s[4:5]
	v_mul_f64 v[6:7], v[6:7], s[4:5]
	v_lshlrev_b64 v[8:9], 3, v[8:9]
	v_or_b32_e32 v10, 0x48, v61
	v_cvt_f32_f64_e32 v2, v[2:3]
	v_cvt_f32_f64_e32 v3, v[6:7]
	v_add_co_u32_e32 v6, vcc, v0, v8
	v_addc_co_u32_e32 v7, vcc, v1, v9, vcc
	global_store_dwordx2 v[6:7], v[2:3], off
	global_load_dwordx2 v[2:3], v62, s[6:7] offset:512
	v_mad_u64_u32 v[6:7], s[2:3], s0, v223, 0
	s_waitcnt vmcnt(0)
	v_mul_f32_e32 v8, v5, v3
	v_mul_f32_e32 v3, v4, v3
	v_fmac_f32_e32 v8, v4, v2
	v_fma_f32 v4, v2, v5, -v3
	v_cvt_f64_f32_e32 v[2:3], v8
	v_cvt_f64_f32_e32 v[4:5], v4
	v_mad_u64_u32 v[7:8], s[2:3], s1, v223, v[7:8]
	v_mul_f64 v[2:3], v[2:3], s[4:5]
	v_mul_f64 v[4:5], v[4:5], s[4:5]
	v_lshlrev_b64 v[6:7], 3, v[6:7]
	v_mad_u64_u32 v[8:9], s[2:3], s0, v10, 0
	v_mad_u64_u32 v[9:10], s[2:3], s1, v10, v[9:10]
	v_cvt_f32_f64_e32 v2, v[2:3]
	v_cvt_f32_f64_e32 v3, v[4:5]
	v_add_co_u32_e32 v4, vcc, v0, v6
	v_addc_co_u32_e32 v5, vcc, v1, v7, vcc
	global_store_dwordx2 v[4:5], v[2:3], off
	global_load_dwordx2 v[6:7], v62, s[6:7] offset:576
	ds_read2_b64 v[2:5], v73 offset0:72 offset1:80
	v_lshlrev_b64 v[8:9], 3, v[8:9]
	v_or_b32_e32 v10, 0x58, v61
	s_waitcnt vmcnt(0) lgkmcnt(0)
	v_mul_f32_e32 v11, v3, v7
	v_mul_f32_e32 v7, v2, v7
	v_fmac_f32_e32 v11, v2, v6
	v_fma_f32 v6, v6, v3, -v7
	v_cvt_f64_f32_e32 v[2:3], v11
	v_cvt_f64_f32_e32 v[6:7], v6
	v_mul_f64 v[2:3], v[2:3], s[4:5]
	v_mul_f64 v[6:7], v[6:7], s[4:5]
	v_cvt_f32_f64_e32 v2, v[2:3]
	v_cvt_f32_f64_e32 v3, v[6:7]
	v_add_co_u32_e32 v6, vcc, v0, v8
	v_addc_co_u32_e32 v7, vcc, v1, v9, vcc
	global_store_dwordx2 v[6:7], v[2:3], off
	global_load_dwordx2 v[2:3], v62, s[6:7] offset:640
	v_or_b32_e32 v8, 0x50, v61
	v_mad_u64_u32 v[6:7], s[2:3], s0, v8, 0
	v_mad_u64_u32 v[7:8], s[2:3], s1, v8, v[7:8]
	v_lshlrev_b64 v[6:7], 3, v[6:7]
	s_waitcnt vmcnt(0)
	v_mul_f32_e32 v9, v5, v3
	v_mul_f32_e32 v3, v4, v3
	v_fmac_f32_e32 v9, v4, v2
	v_fma_f32 v4, v2, v5, -v3
	v_cvt_f64_f32_e32 v[2:3], v9
	v_cvt_f64_f32_e32 v[4:5], v4
	v_mad_u64_u32 v[8:9], s[2:3], s0, v10, 0
	v_mul_f64 v[2:3], v[2:3], s[4:5]
	v_mul_f64 v[4:5], v[4:5], s[4:5]
	v_mad_u64_u32 v[9:10], s[2:3], s1, v10, v[9:10]
	v_or_b32_e32 v10, 0x68, v61
	v_lshlrev_b64 v[8:9], 3, v[8:9]
	v_cvt_f32_f64_e32 v2, v[2:3]
	v_cvt_f32_f64_e32 v3, v[4:5]
	v_add_co_u32_e32 v4, vcc, v0, v6
	v_addc_co_u32_e32 v5, vcc, v1, v7, vcc
	global_store_dwordx2 v[4:5], v[2:3], off
	global_load_dwordx2 v[6:7], v62, s[6:7] offset:704
	ds_read2_b64 v[2:5], v73 offset0:88 offset1:96
	s_waitcnt vmcnt(0) lgkmcnt(0)
	v_mul_f32_e32 v11, v3, v7
	v_mul_f32_e32 v7, v2, v7
	v_fmac_f32_e32 v11, v2, v6
	v_fma_f32 v6, v6, v3, -v7
	v_cvt_f64_f32_e32 v[2:3], v11
	v_cvt_f64_f32_e32 v[6:7], v6
	v_mul_f64 v[2:3], v[2:3], s[4:5]
	v_mul_f64 v[6:7], v[6:7], s[4:5]
	v_cvt_f32_f64_e32 v2, v[2:3]
	v_cvt_f32_f64_e32 v3, v[6:7]
	v_add_co_u32_e32 v6, vcc, v0, v8
	v_addc_co_u32_e32 v7, vcc, v1, v9, vcc
	global_store_dwordx2 v[6:7], v[2:3], off
	global_load_dwordx2 v[2:3], v62, s[6:7] offset:768
	v_or_b32_e32 v8, 0x60, v61
	v_mad_u64_u32 v[6:7], s[2:3], s0, v8, 0
	v_mad_u64_u32 v[7:8], s[2:3], s1, v8, v[7:8]
	v_lshlrev_b64 v[6:7], 3, v[6:7]
	s_waitcnt vmcnt(0)
	v_mul_f32_e32 v9, v5, v3
	v_mul_f32_e32 v3, v4, v3
	v_fmac_f32_e32 v9, v4, v2
	v_fma_f32 v4, v2, v5, -v3
	v_cvt_f64_f32_e32 v[2:3], v9
	v_cvt_f64_f32_e32 v[4:5], v4
	v_mad_u64_u32 v[8:9], s[2:3], s0, v10, 0
	v_mul_f64 v[2:3], v[2:3], s[4:5]
	v_mul_f64 v[4:5], v[4:5], s[4:5]
	v_mad_u64_u32 v[9:10], s[2:3], s1, v10, v[9:10]
	v_or_b32_e32 v10, 0x78, v61
	v_lshlrev_b64 v[8:9], 3, v[8:9]
	v_cvt_f32_f64_e32 v2, v[2:3]
	v_cvt_f32_f64_e32 v3, v[4:5]
	v_add_co_u32_e32 v4, vcc, v0, v6
	v_addc_co_u32_e32 v5, vcc, v1, v7, vcc
	global_store_dwordx2 v[4:5], v[2:3], off
	global_load_dwordx2 v[6:7], v62, s[6:7] offset:832
	ds_read2_b64 v[2:5], v73 offset0:104 offset1:112
	s_waitcnt vmcnt(0) lgkmcnt(0)
	v_mul_f32_e32 v11, v3, v7
	v_mul_f32_e32 v7, v2, v7
	v_fmac_f32_e32 v11, v2, v6
	v_fma_f32 v6, v6, v3, -v7
	v_cvt_f64_f32_e32 v[2:3], v11
	v_cvt_f64_f32_e32 v[6:7], v6
	v_mul_f64 v[2:3], v[2:3], s[4:5]
	v_mul_f64 v[6:7], v[6:7], s[4:5]
	v_cvt_f32_f64_e32 v2, v[2:3]
	v_cvt_f32_f64_e32 v3, v[6:7]
	v_add_co_u32_e32 v6, vcc, v0, v8
	v_addc_co_u32_e32 v7, vcc, v1, v9, vcc
	global_store_dwordx2 v[6:7], v[2:3], off
	global_load_dwordx2 v[2:3], v62, s[6:7] offset:896
	v_or_b32_e32 v8, 0x70, v61
	v_mad_u64_u32 v[6:7], s[2:3], s0, v8, 0
	v_mad_u64_u32 v[7:8], s[2:3], s1, v8, v[7:8]
	v_lshlrev_b64 v[6:7], 3, v[6:7]
	s_waitcnt vmcnt(0)
	v_mul_f32_e32 v9, v5, v3
	v_mul_f32_e32 v3, v4, v3
	v_fmac_f32_e32 v9, v4, v2
	v_fma_f32 v4, v2, v5, -v3
	v_cvt_f64_f32_e32 v[2:3], v9
	v_cvt_f64_f32_e32 v[4:5], v4
	v_mad_u64_u32 v[8:9], s[2:3], s0, v10, 0
	v_mul_f64 v[2:3], v[2:3], s[4:5]
	v_mul_f64 v[4:5], v[4:5], s[4:5]
	v_mad_u64_u32 v[9:10], s[2:3], s1, v10, v[9:10]
	v_lshlrev_b64 v[8:9], 3, v[8:9]
	v_cvt_f32_f64_e32 v2, v[2:3]
	v_cvt_f32_f64_e32 v3, v[4:5]
	v_add_co_u32_e32 v4, vcc, v0, v6
	v_addc_co_u32_e32 v5, vcc, v1, v7, vcc
	global_store_dwordx2 v[4:5], v[2:3], off
	global_load_dwordx2 v[6:7], v62, s[6:7] offset:960
	ds_read2_b64 v[2:5], v73 offset0:120 offset1:128
	s_waitcnt vmcnt(0) lgkmcnt(0)
	v_mul_f32_e32 v11, v3, v7
	v_mul_f32_e32 v7, v2, v7
	v_fmac_f32_e32 v11, v2, v6
	v_fma_f32 v6, v6, v3, -v7
	v_cvt_f64_f32_e32 v[2:3], v11
	v_cvt_f64_f32_e32 v[6:7], v6
	v_mul_f64 v[2:3], v[2:3], s[4:5]
	v_mul_f64 v[6:7], v[6:7], s[4:5]
	v_cvt_f32_f64_e32 v2, v[2:3]
	v_cvt_f32_f64_e32 v3, v[6:7]
	v_add_co_u32_e32 v6, vcc, v0, v8
	v_addc_co_u32_e32 v7, vcc, v1, v9, vcc
	global_store_dwordx2 v[6:7], v[2:3], off
	global_load_dwordx2 v[2:3], v62, s[6:7] offset:1024
	v_or_b32_e32 v8, 0x80, v61
	v_mad_u64_u32 v[6:7], s[2:3], s0, v8, 0
	v_mad_u64_u32 v[7:8], s[0:1], s1, v8, v[7:8]
	v_lshlrev_b64 v[6:7], 3, v[6:7]
	v_add_co_u32_e32 v0, vcc, v0, v6
	v_addc_co_u32_e32 v1, vcc, v1, v7, vcc
	s_waitcnt vmcnt(0)
	v_mul_f32_e32 v9, v5, v3
	v_mul_f32_e32 v3, v4, v3
	v_fmac_f32_e32 v9, v4, v2
	v_fma_f32 v4, v2, v5, -v3
	v_cvt_f64_f32_e32 v[2:3], v9
	v_cvt_f64_f32_e32 v[4:5], v4
	v_mul_f64 v[2:3], v[2:3], s[4:5]
	v_mul_f64 v[4:5], v[4:5], s[4:5]
	v_cvt_f32_f64_e32 v2, v[2:3]
	v_cvt_f32_f64_e32 v3, v[4:5]
	global_store_dwordx2 v[0:1], v[2:3], off
.LBB0_15:
	s_endpgm
	.section	.rodata,"a",@progbits
	.p2align	6, 0x0
	.amdhsa_kernel bluestein_single_fwd_len136_dim1_sp_op_CI_CI
		.amdhsa_group_segment_fixed_size 7616
		.amdhsa_private_segment_fixed_size 12
		.amdhsa_kernarg_size 104
		.amdhsa_user_sgpr_count 6
		.amdhsa_user_sgpr_private_segment_buffer 1
		.amdhsa_user_sgpr_dispatch_ptr 0
		.amdhsa_user_sgpr_queue_ptr 0
		.amdhsa_user_sgpr_kernarg_segment_ptr 1
		.amdhsa_user_sgpr_dispatch_id 0
		.amdhsa_user_sgpr_flat_scratch_init 0
		.amdhsa_user_sgpr_private_segment_size 0
		.amdhsa_uses_dynamic_stack 0
		.amdhsa_system_sgpr_private_segment_wavefront_offset 1
		.amdhsa_system_sgpr_workgroup_id_x 1
		.amdhsa_system_sgpr_workgroup_id_y 0
		.amdhsa_system_sgpr_workgroup_id_z 0
		.amdhsa_system_sgpr_workgroup_info 0
		.amdhsa_system_vgpr_workitem_id 0
		.amdhsa_next_free_vgpr 256
		.amdhsa_next_free_sgpr 24
		.amdhsa_reserve_vcc 1
		.amdhsa_reserve_flat_scratch 0
		.amdhsa_float_round_mode_32 0
		.amdhsa_float_round_mode_16_64 0
		.amdhsa_float_denorm_mode_32 3
		.amdhsa_float_denorm_mode_16_64 3
		.amdhsa_dx10_clamp 1
		.amdhsa_ieee_mode 1
		.amdhsa_fp16_overflow 0
		.amdhsa_exception_fp_ieee_invalid_op 0
		.amdhsa_exception_fp_denorm_src 0
		.amdhsa_exception_fp_ieee_div_zero 0
		.amdhsa_exception_fp_ieee_overflow 0
		.amdhsa_exception_fp_ieee_underflow 0
		.amdhsa_exception_fp_ieee_inexact 0
		.amdhsa_exception_int_div_zero 0
	.end_amdhsa_kernel
	.text
.Lfunc_end0:
	.size	bluestein_single_fwd_len136_dim1_sp_op_CI_CI, .Lfunc_end0-bluestein_single_fwd_len136_dim1_sp_op_CI_CI
                                        ; -- End function
	.section	.AMDGPU.csdata,"",@progbits
; Kernel info:
; codeLenInByte = 16416
; NumSgprs: 28
; NumVgprs: 256
; ScratchSize: 12
; MemoryBound: 0
; FloatMode: 240
; IeeeMode: 1
; LDSByteSize: 7616 bytes/workgroup (compile time only)
; SGPRBlocks: 3
; VGPRBlocks: 63
; NumSGPRsForWavesPerEU: 28
; NumVGPRsForWavesPerEU: 256
; Occupancy: 1
; WaveLimiterHint : 1
; COMPUTE_PGM_RSRC2:SCRATCH_EN: 1
; COMPUTE_PGM_RSRC2:USER_SGPR: 6
; COMPUTE_PGM_RSRC2:TRAP_HANDLER: 0
; COMPUTE_PGM_RSRC2:TGID_X_EN: 1
; COMPUTE_PGM_RSRC2:TGID_Y_EN: 0
; COMPUTE_PGM_RSRC2:TGID_Z_EN: 0
; COMPUTE_PGM_RSRC2:TIDIG_COMP_CNT: 0
	.type	__hip_cuid_246ddad56884566,@object ; @__hip_cuid_246ddad56884566
	.section	.bss,"aw",@nobits
	.globl	__hip_cuid_246ddad56884566
__hip_cuid_246ddad56884566:
	.byte	0                               ; 0x0
	.size	__hip_cuid_246ddad56884566, 1

	.ident	"AMD clang version 19.0.0git (https://github.com/RadeonOpenCompute/llvm-project roc-6.4.0 25133 c7fe45cf4b819c5991fe208aaa96edf142730f1d)"
	.section	".note.GNU-stack","",@progbits
	.addrsig
	.addrsig_sym __hip_cuid_246ddad56884566
	.amdgpu_metadata
---
amdhsa.kernels:
  - .args:
      - .actual_access:  read_only
        .address_space:  global
        .offset:         0
        .size:           8
        .value_kind:     global_buffer
      - .actual_access:  read_only
        .address_space:  global
        .offset:         8
        .size:           8
        .value_kind:     global_buffer
      - .actual_access:  read_only
        .address_space:  global
        .offset:         16
        .size:           8
        .value_kind:     global_buffer
      - .actual_access:  read_only
        .address_space:  global
        .offset:         24
        .size:           8
        .value_kind:     global_buffer
      - .actual_access:  read_only
        .address_space:  global
        .offset:         32
        .size:           8
        .value_kind:     global_buffer
      - .offset:         40
        .size:           8
        .value_kind:     by_value
      - .address_space:  global
        .offset:         48
        .size:           8
        .value_kind:     global_buffer
      - .address_space:  global
        .offset:         56
        .size:           8
        .value_kind:     global_buffer
      - .address_space:  global
        .offset:         64
        .size:           8
        .value_kind:     global_buffer
      - .address_space:  global
        .offset:         72
        .size:           8
        .value_kind:     global_buffer
      - .offset:         80
        .size:           4
        .value_kind:     by_value
      - .address_space:  global
        .offset:         88
        .size:           8
        .value_kind:     global_buffer
      - .address_space:  global
        .offset:         96
        .size:           8
        .value_kind:     global_buffer
    .group_segment_fixed_size: 7616
    .kernarg_segment_align: 8
    .kernarg_segment_size: 104
    .language:       OpenCL C
    .language_version:
      - 2
      - 0
    .max_flat_workgroup_size: 119
    .name:           bluestein_single_fwd_len136_dim1_sp_op_CI_CI
    .private_segment_fixed_size: 12
    .sgpr_count:     28
    .sgpr_spill_count: 0
    .symbol:         bluestein_single_fwd_len136_dim1_sp_op_CI_CI.kd
    .uniform_work_group_size: 1
    .uses_dynamic_stack: false
    .vgpr_count:     256
    .vgpr_spill_count: 2
    .wavefront_size: 64
amdhsa.target:   amdgcn-amd-amdhsa--gfx906
amdhsa.version:
  - 1
  - 2
...

	.end_amdgpu_metadata
